;; amdgpu-corpus repo=pytorch/pytorch kind=compiled arch=gfx90a opt=O3
	.text
	.amdgcn_target "amdgcn-amd-amdhsa--gfx90a"
	.amdhsa_code_object_version 6
	.section	.text._ZN2at6native12_GLOBAL__N_122cdist_kernel_cuda_implIdNS1_5distsIdE1pEEEvPT_PKS6_S9_S6_lllll,"axG",@progbits,_ZN2at6native12_GLOBAL__N_122cdist_kernel_cuda_implIdNS1_5distsIdE1pEEEvPT_PKS6_S9_S6_lllll,comdat
	.globl	_ZN2at6native12_GLOBAL__N_122cdist_kernel_cuda_implIdNS1_5distsIdE1pEEEvPT_PKS6_S9_S6_lllll ; -- Begin function _ZN2at6native12_GLOBAL__N_122cdist_kernel_cuda_implIdNS1_5distsIdE1pEEEvPT_PKS6_S9_S6_lllll
	.p2align	8
	.type	_ZN2at6native12_GLOBAL__N_122cdist_kernel_cuda_implIdNS1_5distsIdE1pEEEvPT_PKS6_S9_S6_lllll,@function
_ZN2at6native12_GLOBAL__N_122cdist_kernel_cuda_implIdNS1_5distsIdE1pEEEvPT_PKS6_S9_S6_lllll: ; @_ZN2at6native12_GLOBAL__N_122cdist_kernel_cuda_implIdNS1_5distsIdE1pEEEvPT_PKS6_S9_S6_lllll
; %bb.0:
	s_load_dwordx16 s[12:27], s[4:5], 0x0
	s_mov_b32 s7, 0
	s_mov_b32 s0, s7
	s_waitcnt lgkmcnt(0)
	s_mov_b32 s1, s25
	s_cmp_lg_u64 s[0:1], 0
	s_cbranch_scc0 .LBB0_19
; %bb.1:
	s_ashr_i32 s8, s25, 31
	s_add_u32 s0, s24, s8
	s_mov_b32 s9, s8
	s_addc_u32 s1, s25, s8
	s_xor_b64 s[2:3], s[0:1], s[8:9]
	v_cvt_f32_u32_e32 v1, s2
	v_cvt_f32_u32_e32 v2, s3
	s_sub_u32 s0, 0, s2
	s_subb_u32 s1, 0, s3
	v_madmk_f32 v1, v2, 0x4f800000, v1
	v_rcp_f32_e32 v1, v1
	v_mul_f32_e32 v1, 0x5f7ffffc, v1
	v_mul_f32_e32 v2, 0x2f800000, v1
	v_trunc_f32_e32 v2, v2
	v_madmk_f32 v1, v2, 0xcf800000, v1
	v_cvt_u32_f32_e32 v2, v2
	v_cvt_u32_f32_e32 v1, v1
	v_readfirstlane_b32 s28, v2
	v_readfirstlane_b32 s29, v1
	s_mul_i32 s30, s0, s28
	s_mul_hi_u32 s33, s0, s29
	s_mul_i32 s31, s1, s29
	s_add_i32 s30, s33, s30
	s_add_i32 s30, s30, s31
	s_mul_i32 s34, s0, s29
	s_mul_hi_u32 s31, s29, s30
	s_mul_i32 s33, s29, s30
	s_mul_hi_u32 s29, s29, s34
	s_add_u32 s29, s29, s33
	s_addc_u32 s31, 0, s31
	s_mul_hi_u32 s35, s28, s34
	s_mul_i32 s34, s28, s34
	s_add_u32 s29, s29, s34
	s_mul_hi_u32 s33, s28, s30
	s_addc_u32 s29, s31, s35
	s_addc_u32 s31, s33, 0
	s_mul_i32 s30, s28, s30
	s_add_u32 s29, s29, s30
	s_addc_u32 s30, 0, s31
	v_add_co_u32_e32 v1, vcc, s29, v1
	s_cmp_lg_u64 vcc, 0
	s_addc_u32 s28, s28, s30
	v_readfirstlane_b32 s30, v1
	s_mul_i32 s29, s0, s28
	s_mul_hi_u32 s31, s0, s30
	s_add_i32 s29, s31, s29
	s_mul_i32 s1, s1, s30
	s_add_i32 s29, s29, s1
	s_mul_i32 s0, s0, s30
	s_mul_hi_u32 s31, s28, s0
	s_mul_i32 s33, s28, s0
	s_mul_i32 s35, s30, s29
	s_mul_hi_u32 s0, s30, s0
	s_mul_hi_u32 s34, s30, s29
	s_add_u32 s0, s0, s35
	s_addc_u32 s30, 0, s34
	s_add_u32 s0, s0, s33
	s_mul_hi_u32 s1, s28, s29
	s_addc_u32 s0, s30, s31
	s_addc_u32 s1, s1, 0
	s_mul_i32 s29, s28, s29
	s_add_u32 s0, s0, s29
	s_addc_u32 s1, 0, s1
	v_add_co_u32_e32 v1, vcc, s0, v1
	s_cmp_lg_u64 vcc, 0
	s_addc_u32 s0, s28, s1
	v_readfirstlane_b32 s28, v1
	s_mul_hi_u32 s1, s6, s0
	s_mul_i32 s0, s6, s0
	s_mul_hi_u32 s28, s6, s28
	s_add_u32 s0, s28, s0
	s_addc_u32 s1, 0, s1
	s_add_u32 s0, s0, 0
	s_addc_u32 s0, s1, 0
	s_addc_u32 s1, 0, 0
	s_add_u32 s28, s0, 0
	s_addc_u32 s29, 0, s1
	s_mul_i32 s0, s2, s29
	s_mul_hi_u32 s1, s2, s28
	s_add_i32 s0, s1, s0
	s_mul_i32 s1, s3, s28
	s_add_i32 s30, s0, s1
	s_mul_i32 s1, s2, s28
	v_mov_b32_e32 v1, s1
	s_sub_i32 s0, 0, s30
	v_sub_co_u32_e32 v1, vcc, s6, v1
	s_cmp_lg_u64 vcc, 0
	s_subb_u32 s31, s0, s3
	v_subrev_co_u32_e64 v2, s[0:1], s2, v1
	s_cmp_lg_u64 s[0:1], 0
	s_subb_u32 s0, s31, 0
	s_cmp_ge_u32 s0, s3
	v_readfirstlane_b32 s31, v2
	s_cselect_b32 s1, -1, 0
	s_cmp_ge_u32 s31, s2
	s_cselect_b32 s31, -1, 0
	s_cmp_eq_u32 s0, s3
	s_cselect_b32 s0, s31, s1
	s_add_u32 s1, s28, 1
	s_addc_u32 s31, s29, 0
	s_add_u32 s33, s28, 2
	s_addc_u32 s34, s29, 0
	s_cmp_lg_u32 s0, 0
	s_cselect_b32 s0, s33, s1
	s_cselect_b32 s1, s34, s31
	s_cmp_lg_u64 vcc, 0
	s_subb_u32 s30, 0, s30
	s_cmp_ge_u32 s30, s3
	v_readfirstlane_b32 s33, v1
	s_cselect_b32 s31, -1, 0
	s_cmp_ge_u32 s33, s2
	s_cselect_b32 s2, -1, 0
	s_cmp_eq_u32 s30, s3
	s_cselect_b32 s2, s2, s31
	s_cmp_lg_u32 s2, 0
	s_cselect_b32 s1, s1, s29
	s_cselect_b32 s0, s0, s28
	s_xor_b64 s[0:1], s[0:1], s[8:9]
	s_sub_u32 s2, s0, s8
	s_subb_u32 s3, s1, s8
	s_cbranch_execnz .LBB0_3
.LBB0_2:
	v_cvt_f32_u32_e32 v1, s24
	s_sub_i32 s0, 0, s24
	s_mov_b32 s3, 0
	v_rcp_iflag_f32_e32 v1, v1
	v_mul_f32_e32 v1, 0x4f7ffffe, v1
	v_cvt_u32_f32_e32 v1, v1
	v_readfirstlane_b32 s1, v1
	s_mul_i32 s0, s0, s1
	s_mul_hi_u32 s0, s1, s0
	s_add_i32 s1, s1, s0
	s_mul_hi_u32 s0, s6, s1
	s_mul_i32 s2, s0, s24
	s_sub_i32 s2, s6, s2
	s_add_i32 s1, s0, 1
	s_sub_i32 s8, s2, s24
	s_cmp_ge_u32 s2, s24
	s_cselect_b32 s0, s1, s0
	s_cselect_b32 s2, s8, s2
	s_add_i32 s1, s0, 1
	s_cmp_ge_u32 s2, s24
	s_cselect_b32 s2, s1, s0
.LBB0_3:
	s_mul_i32 s0, s2, s25
	s_mul_hi_u32 s1, s2, s24
	s_add_i32 s0, s1, s0
	s_mul_i32 s1, s3, s24
	s_add_i32 s0, s0, s1
	s_mul_i32 s1, s2, s24
	s_sub_u32 s8, s6, s1
	s_subb_u32 s9, 0, s0
	s_or_b64 s[0:1], s[8:9], s[20:21]
	s_mov_b32 s0, 0
	s_cmp_lg_u64 s[0:1], 0
	s_cbranch_scc0 .LBB0_20
; %bb.4:
	s_ashr_i32 s10, s21, 31
	s_add_u32 s0, s20, s10
	s_mov_b32 s11, s10
	s_addc_u32 s1, s21, s10
	s_xor_b64 s[28:29], s[0:1], s[10:11]
	v_cvt_f32_u32_e32 v1, s28
	v_cvt_f32_u32_e32 v2, s29
	s_sub_u32 s0, 0, s28
	s_subb_u32 s1, 0, s29
	v_madmk_f32 v1, v2, 0x4f800000, v1
	v_rcp_f32_e32 v1, v1
	v_mul_f32_e32 v1, 0x5f7ffffc, v1
	v_mul_f32_e32 v2, 0x2f800000, v1
	v_trunc_f32_e32 v2, v2
	v_madmk_f32 v1, v2, 0xcf800000, v1
	v_cvt_u32_f32_e32 v2, v2
	v_cvt_u32_f32_e32 v1, v1
	v_readfirstlane_b32 s30, v2
	v_readfirstlane_b32 s31, v1
	s_mul_i32 s33, s0, s30
	s_mul_hi_u32 s35, s0, s31
	s_mul_i32 s34, s1, s31
	s_add_i32 s33, s35, s33
	s_add_i32 s33, s33, s34
	s_mul_i32 s36, s0, s31
	s_mul_hi_u32 s34, s31, s33
	s_mul_i32 s35, s31, s33
	s_mul_hi_u32 s31, s31, s36
	s_add_u32 s31, s31, s35
	s_addc_u32 s34, 0, s34
	s_mul_hi_u32 s37, s30, s36
	s_mul_i32 s36, s30, s36
	s_add_u32 s31, s31, s36
	s_mul_hi_u32 s35, s30, s33
	s_addc_u32 s31, s34, s37
	s_addc_u32 s34, s35, 0
	s_mul_i32 s33, s30, s33
	s_add_u32 s31, s31, s33
	s_addc_u32 s33, 0, s34
	v_add_co_u32_e32 v1, vcc, s31, v1
	s_cmp_lg_u64 vcc, 0
	s_addc_u32 s30, s30, s33
	v_readfirstlane_b32 s33, v1
	s_mul_i32 s31, s0, s30
	s_mul_hi_u32 s34, s0, s33
	s_add_i32 s31, s34, s31
	s_mul_i32 s1, s1, s33
	s_add_i32 s31, s31, s1
	s_mul_i32 s0, s0, s33
	s_mul_hi_u32 s34, s30, s0
	s_mul_i32 s35, s30, s0
	s_mul_i32 s37, s33, s31
	s_mul_hi_u32 s0, s33, s0
	s_mul_hi_u32 s36, s33, s31
	s_add_u32 s0, s0, s37
	s_addc_u32 s33, 0, s36
	s_add_u32 s0, s0, s35
	s_mul_hi_u32 s1, s30, s31
	s_addc_u32 s0, s33, s34
	s_addc_u32 s1, s1, 0
	s_mul_i32 s31, s30, s31
	s_add_u32 s0, s0, s31
	s_addc_u32 s1, 0, s1
	v_add_co_u32_e32 v1, vcc, s0, v1
	s_cmp_lg_u64 vcc, 0
	s_addc_u32 s33, s30, s1
	s_ashr_i32 s30, s9, 31
	s_add_u32 s0, s8, s30
	s_mov_b32 s31, s30
	s_addc_u32 s1, s9, s30
	s_xor_b64 s[34:35], s[0:1], s[30:31]
	v_readfirstlane_b32 s36, v1
	s_mul_i32 s1, s34, s33
	s_mul_hi_u32 s37, s34, s36
	s_mul_hi_u32 s0, s34, s33
	s_add_u32 s1, s37, s1
	s_addc_u32 s0, 0, s0
	s_mul_hi_u32 s38, s35, s36
	s_mul_i32 s36, s35, s36
	s_add_u32 s1, s1, s36
	s_mul_hi_u32 s37, s35, s33
	s_addc_u32 s0, s0, s38
	s_addc_u32 s1, s37, 0
	s_mul_i32 s33, s35, s33
	s_add_u32 s33, s0, s33
	s_addc_u32 s36, 0, s1
	s_mul_i32 s0, s28, s36
	s_mul_hi_u32 s1, s28, s33
	s_add_i32 s0, s1, s0
	s_mul_i32 s1, s29, s33
	s_add_i32 s37, s0, s1
	s_mul_i32 s1, s28, s33
	v_mov_b32_e32 v1, s1
	s_sub_i32 s0, s35, s37
	v_sub_co_u32_e32 v1, vcc, s34, v1
	s_cmp_lg_u64 vcc, 0
	s_subb_u32 s34, s0, s29
	v_subrev_co_u32_e64 v2, s[0:1], s28, v1
	s_cmp_lg_u64 s[0:1], 0
	s_subb_u32 s0, s34, 0
	s_cmp_ge_u32 s0, s29
	v_readfirstlane_b32 s34, v2
	s_cselect_b32 s1, -1, 0
	s_cmp_ge_u32 s34, s28
	s_cselect_b32 s34, -1, 0
	s_cmp_eq_u32 s0, s29
	s_cselect_b32 s0, s34, s1
	s_add_u32 s1, s33, 1
	s_addc_u32 s34, s36, 0
	s_add_u32 s38, s33, 2
	s_addc_u32 s39, s36, 0
	s_cmp_lg_u32 s0, 0
	s_cselect_b32 s0, s38, s1
	s_cselect_b32 s1, s39, s34
	s_cmp_lg_u64 vcc, 0
	s_subb_u32 s34, s35, s37
	s_cmp_ge_u32 s34, s29
	v_readfirstlane_b32 s37, v1
	s_cselect_b32 s35, -1, 0
	s_cmp_ge_u32 s37, s28
	s_cselect_b32 s28, -1, 0
	s_cmp_eq_u32 s34, s29
	s_cselect_b32 s28, s28, s35
	s_cmp_lg_u32 s28, 0
	s_cselect_b32 s1, s1, s36
	s_cselect_b32 s0, s0, s33
	s_xor_b64 s[10:11], s[30:31], s[10:11]
	s_xor_b64 s[0:1], s[0:1], s[10:11]
	s_sub_u32 s0, s0, s10
	s_subb_u32 s1, s1, s11
	s_cbranch_execnz .LBB0_6
.LBB0_5:
	v_cvt_f32_u32_e32 v1, s20
	s_sub_i32 s0, 0, s20
	s_mov_b32 s1, 0
	v_rcp_iflag_f32_e32 v1, v1
	v_mul_f32_e32 v1, 0x4f7ffffe, v1
	v_cvt_u32_f32_e32 v1, v1
	v_readfirstlane_b32 s10, v1
	s_mul_i32 s0, s0, s10
	s_mul_hi_u32 s0, s10, s0
	s_add_i32 s10, s10, s0
	s_mul_hi_u32 s0, s8, s10
	s_mul_i32 s11, s0, s20
	s_sub_i32 s11, s8, s11
	s_add_i32 s10, s0, 1
	s_sub_i32 s24, s11, s20
	s_cmp_ge_u32 s11, s20
	s_cselect_b32 s0, s10, s0
	s_cselect_b32 s11, s24, s11
	s_add_i32 s10, s0, 1
	s_cmp_ge_u32 s11, s20
	s_cselect_b32 s0, s10, s0
.LBB0_6:
	s_load_dword s10, s[4:5], 0x54
	v_mov_b32_e32 v2, 0
	v_mov_b32_e32 v1, v2
	v_cmp_gt_i64_e32 vcc, s[22:23], v[0:1]
	v_pk_mov_b32 v[8:9], 0, 0
	s_waitcnt lgkmcnt(0)
	s_and_b32 s33, s10, 0xffff
	s_and_saveexec_b64 s[24:25], vcc
	s_cbranch_execz .LBB0_10
; %bb.7:
	s_mul_i32 s10, s2, s27
	s_mul_hi_u32 s11, s2, s26
	s_add_i32 s10, s11, s10
	s_mul_i32 s11, s3, s26
	s_add_i32 s11, s10, s11
	s_mul_i32 s10, s2, s26
	s_lshl_b64 s[10:11], s[10:11], 3
	s_add_u32 s14, s14, s10
	s_addc_u32 s15, s15, s11
	s_mul_i32 s10, s0, s23
	s_mul_hi_u32 s11, s0, s22
	s_add_i32 s10, s11, s10
	s_mul_i32 s11, s1, s22
	s_load_dwordx2 s[4:5], s[4:5], 0x40
	s_add_i32 s11, s10, s11
	s_mul_i32 s10, s0, s22
	s_lshl_b64 s[10:11], s[10:11], 3
	s_add_u32 s50, s14, s10
	s_addc_u32 s26, s15, s11
	s_lshl_b64 s[10:11], s[22:23], 3
	s_add_u32 s14, s50, s10
	s_waitcnt lgkmcnt(0)
	s_mul_i32 s5, s2, s5
	s_mul_hi_u32 s10, s2, s4
	s_addc_u32 s15, s26, s11
	s_add_i32 s5, s10, s5
	s_mul_i32 s3, s3, s4
	s_add_i32 s3, s5, s3
	s_mul_i32 s2, s2, s4
	s_lshl_b64 s[2:3], s[2:3], 3
	s_add_u32 s2, s16, s2
	s_mul_i32 s4, s0, s21
	s_mul_hi_u32 s5, s0, s20
	s_addc_u32 s3, s17, s3
	s_add_i32 s4, s5, s4
	s_mul_i32 s1, s1, s20
	s_add_i32 s4, s4, s1
	s_mul_i32 s0, s0, s20
	s_sub_u32 s0, s8, s0
	s_subb_u32 s1, s9, s4
	s_mul_i32 s4, s0, s23
	s_mul_hi_u32 s5, s0, s22
	s_add_i32 s4, s5, s4
	s_mul_i32 s1, s1, s22
	s_add_i32 s1, s4, s1
	s_mul_i32 s0, s0, s22
	s_lshl_b64 s[0:1], s[0:1], 3
	v_lshlrev_b32_e32 v4, 3, v0
	s_add_u32 s52, s2, s0
	v_mov_b32_e32 v3, s26
	v_add_co_u32_e32 v6, vcc, s50, v4
	s_addc_u32 s0, s3, s1
	v_mov_b32_e32 v58, s26
	s_mov_b32 s20, 0x55555555
	s_mov_b32 s22, 0x4222de17
	;; [unrolled: 1-line block ×11, first 2 shown]
	v_mov_b32_e32 v1, v2
	v_addc_co_u32_e32 v7, vcc, 0, v3, vcc
	s_lshl_b32 s53, s33, 3
	s_mov_b64 s[16:17], 0
	v_pk_mov_b32 v[8:9], 0, 0
	v_mov_b32_e32 v5, s0
	v_mov_b32_e32 v59, s19
	;; [unrolled: 1-line block ×4, first 2 shown]
	s_mov_b32 s21, 0x3fe55555
	v_mov_b32_e32 v10, 0x968915a9
	v_mov_b32_e32 v11, 0x3fba6564
	s_mov_b32 s23, 0x3fbdee67
	v_mov_b32_e32 v12, 0x3abe935a
	v_mov_b32_e32 v13, 0x3fbe25e4
	;; [unrolled: 1-line block ×14, first 2 shown]
	s_mov_b32 s27, 0x3fe62e42
	s_mov_b32 s29, 0x3c7abc9e
	;; [unrolled: 1-line block ×4, first 2 shown]
	s_movk_i32 s54, 0x204
	s_mov_b32 s37, 0x7ff00000
	s_mov_b32 s39, 0x3ff71547
	;; [unrolled: 1-line block ×4, first 2 shown]
	v_mov_b32_e32 v26, 0xfca7ab0c
	v_mov_b32_e32 v27, 0x3e928af3
	s_mov_b32 s45, 0x3e5ade15
	v_mov_b32_e32 v28, 0x623fde64
	v_mov_b32_e32 v29, 0x3ec71dee
	;; [unrolled: 1-line block ×8, first 2 shown]
	s_mov_b32 s47, 0x40900000
	s_mov_b32 s49, 0xc090cc00
	s_lshl_b32 s55, s33, 3
	v_mov_b32_e32 v36, 0x11122322
	v_mov_b32_e32 v37, 0x3f811111
	;; [unrolled: 1-line block ×10, first 2 shown]
.LBB0_8:                                ; =>This Inner Loop Header: Depth=1
	v_add_co_u32_e32 v44, vcc, s52, v4
	v_addc_co_u32_e32 v45, vcc, v5, v1, vcc
	v_add_co_u32_e32 v46, vcc, s50, v4
	v_addc_co_u32_e32 v47, vcc, v58, v1, vcc
	global_load_dwordx2 v[48:49], v[46:47], off
	global_load_dwordx2 v[50:51], v[44:45], off
	s_mov_b32 s30, s20
	s_mov_b32 s40, s26
	;; [unrolled: 1-line block ×3, first 2 shown]
	s_and_b32 s2, s19, 0x7fffffff
	s_waitcnt vmcnt(0)
	v_add_f64 v[46:47], v[48:49], -v[50:51]
	v_cmp_eq_f64_e64 vcc, |v[46:47]|, 1.0
	v_cndmask_b32_e32 v45, v59, v60, vcc
	v_cndmask_b32_e64 v44, v61, 0, vcc
	v_and_b32_e32 v3, 0x7fffffff, v47
	v_cmp_neq_f64_e64 s[0:1], 0, v[44:45]
	v_cndmask_b32_e64 v46, 0, v46, s[0:1]
	v_cndmask_b32_e64 v47, v60, v3, s[0:1]
	v_frexp_mant_f64_e32 v[48:49], v[46:47]
	v_cmp_gt_f64_e64 s[0:1], s[20:21], v[48:49]
	v_cndmask_b32_e64 v3, v60, 2.0, s[0:1]
	v_mul_f64 v[48:49], v[48:49], v[2:3]
	v_add_f64 v[50:51], v[48:49], 1.0
	v_rcp_f64_e32 v[54:55], v[50:51]
	v_add_f64 v[56:57], v[50:51], -1.0
	v_add_f64 v[52:53], v[48:49], -1.0
	v_add_f64 v[48:49], v[48:49], -v[56:57]
	v_fma_f64 v[56:57], -v[50:51], v[54:55], 1.0
	v_fmac_f64_e32 v[54:55], v[56:57], v[54:55]
	v_fma_f64 v[56:57], -v[50:51], v[54:55], 1.0
	v_fmac_f64_e32 v[54:55], v[56:57], v[54:55]
	v_mul_f64 v[56:57], v[52:53], v[54:55]
	v_mul_f64 v[64:65], v[50:51], v[56:57]
	v_fma_f64 v[50:51], v[56:57], v[50:51], -v[64:65]
	v_fmac_f64_e32 v[50:51], v[56:57], v[48:49]
	v_add_f64 v[48:49], v[64:65], v[50:51]
	v_add_f64 v[64:65], v[48:49], -v[64:65]
	v_add_f64 v[50:51], v[64:65], -v[50:51]
	;; [unrolled: 1-line block ×5, first 2 shown]
	v_add_f64 v[48:49], v[50:51], v[48:49]
	v_add_f64 v[48:49], v[64:65], v[48:49]
	v_mul_f64 v[48:49], v[54:55], v[48:49]
	v_add_f64 v[50:51], v[56:57], v[48:49]
	v_add_f64 v[52:53], v[50:51], -v[56:57]
	v_mul_f64 v[54:55], v[50:51], v[50:51]
	v_add_f64 v[48:49], v[48:49], -v[52:53]
	v_fma_f64 v[52:53], v[50:51], v[50:51], -v[54:55]
	v_add_f64 v[56:57], v[48:49], v[48:49]
	v_fmac_f64_e32 v[52:53], v[50:51], v[56:57]
	v_add_f64 v[56:57], v[54:55], v[52:53]
	v_fma_f64 v[64:65], s[22:23], v[56:57], v[10:11]
	v_fma_f64 v[64:65], v[56:57], v[64:65], v[12:13]
	;; [unrolled: 1-line block ×6, first 2 shown]
	v_add_f64 v[54:55], v[56:57], -v[54:55]
	v_fma_f64 v[64:65], v[56:57], v[64:65], v[22:23]
	v_add_f64 v[52:53], v[52:53], -v[54:55]
	v_mul_f64 v[54:55], v[50:51], v[56:57]
	v_fma_f64 v[64:65], v[56:57], v[64:65], v[24:25]
	v_fma_f64 v[66:67], v[56:57], v[50:51], -v[54:55]
	v_mul_f64 v[68:69], v[56:57], v[64:65]
	v_fmac_f64_e32 v[66:67], v[56:57], v[48:49]
	v_fma_f64 v[56:57], v[56:57], v[64:65], -v[68:69]
	v_fmac_f64_e32 v[56:57], v[52:53], v[64:65]
	v_fmac_f64_e32 v[66:67], v[52:53], v[50:51]
	v_add_f64 v[52:53], v[68:69], v[56:57]
	v_add_f64 v[64:65], v[52:53], -v[68:69]
	v_add_f64 v[56:57], v[56:57], -v[64:65]
	v_add_f64 v[64:65], v[52:53], s[20:21]
	v_add_f64 v[68:69], v[64:65], s[30:31]
	v_add_f64 v[52:53], v[52:53], -v[68:69]
	v_add_f64 v[56:57], v[56:57], s[34:35]
	v_add_f64 v[52:53], v[56:57], v[52:53]
	;; [unrolled: 1-line block ×3, first 2 shown]
	v_add_f64 v[64:65], v[64:65], -v[56:57]
	v_add_f64 v[52:53], v[52:53], v[64:65]
	v_add_f64 v[64:65], v[54:55], v[66:67]
	v_mul_f64 v[68:69], v[64:65], v[56:57]
	v_fma_f64 v[70:71], v[64:65], v[56:57], -v[68:69]
	v_fmac_f64_e32 v[70:71], v[64:65], v[52:53]
	v_add_f64 v[52:53], v[64:65], -v[54:55]
	v_frexp_exp_i32_f64_e32 v3, v[46:47]
	v_add_f64 v[52:53], v[66:67], -v[52:53]
	v_subbrev_co_u32_e64 v3, s[0:1], 0, v3, s[0:1]
	v_fmac_f64_e32 v[70:71], v[52:53], v[56:57]
	v_cvt_f64_i32_e32 v[52:53], v3
	v_mul_f64 v[54:55], v[52:53], s[26:27]
	v_fma_f64 v[56:57], v[52:53], s[26:27], -v[54:55]
	v_fmac_f64_e32 v[56:57], s[28:29], v[52:53]
	v_add_f64 v[52:53], v[54:55], v[56:57]
	v_add_f64 v[54:55], v[52:53], -v[54:55]
	v_add_f64 v[54:55], v[56:57], -v[54:55]
	v_add_f64 v[56:57], v[68:69], v[70:71]
	v_ldexp_f64 v[50:51], v[50:51], 1
	v_add_f64 v[64:65], v[56:57], -v[68:69]
	v_add_f64 v[66:67], v[50:51], v[56:57]
	v_add_f64 v[64:65], v[70:71], -v[64:65]
	v_add_f64 v[50:51], v[66:67], -v[50:51]
	v_ldexp_f64 v[48:49], v[48:49], 1
	v_add_f64 v[50:51], v[56:57], -v[50:51]
	v_add_f64 v[48:49], v[48:49], v[64:65]
	v_add_f64 v[48:49], v[48:49], v[50:51]
	v_add_f64 v[50:51], v[66:67], v[48:49]
	v_add_f64 v[56:57], v[50:51], -v[66:67]
	v_add_f64 v[64:65], v[52:53], v[50:51]
	v_add_f64 v[48:49], v[48:49], -v[56:57]
	v_add_f64 v[56:57], v[64:65], -v[52:53]
	;; [unrolled: 1-line block ×5, first 2 shown]
	v_add_f64 v[56:57], v[54:55], v[48:49]
	v_add_f64 v[50:51], v[50:51], v[52:53]
	v_add_f64 v[52:53], v[56:57], -v[54:55]
	v_add_f64 v[48:49], v[48:49], -v[52:53]
	;; [unrolled: 1-line block ×4, first 2 shown]
	v_add_f64 v[50:51], v[56:57], v[50:51]
	v_add_f64 v[48:49], v[48:49], v[52:53]
	;; [unrolled: 1-line block ×3, first 2 shown]
	v_add_f64 v[54:55], v[52:53], -v[64:65]
	v_add_f64 v[50:51], v[50:51], -v[54:55]
	v_add_f64 v[48:49], v[48:49], v[50:51]
	v_add_f64 v[50:51], v[52:53], v[48:49]
	v_add_f64 v[52:53], v[50:51], -v[52:53]
	v_mul_f64 v[54:55], v[44:45], v[50:51]
	v_add_f64 v[48:49], v[48:49], -v[52:53]
	v_fma_f64 v[52:53], v[44:45], v[50:51], -v[54:55]
	v_fmac_f64_e32 v[52:53], v[44:45], v[48:49]
	v_add_f64 v[48:49], v[54:55], v[52:53]
	v_cmp_class_f64_e64 s[0:1], v[54:55], s54
	v_cndmask_b32_e64 v51, v49, v55, s[0:1]
	v_cndmask_b32_e64 v50, v48, v54, s[0:1]
	v_add_f64 v[48:49], v[48:49], -v[54:55]
	v_add_f64 v[48:49], v[52:53], -v[48:49]
	v_mul_f64 v[52:53], v[50:51], s[38:39]
	v_rndne_f64_e32 v[52:53], v[52:53]
	v_fma_f64 v[54:55], s[40:41], v[52:53], v[50:51]
	v_fmac_f64_e32 v[54:55], s[42:43], v[52:53]
	v_fma_f64 v[56:57], s[44:45], v[54:55], v[26:27]
	v_fma_f64 v[56:57], v[54:55], v[56:57], v[28:29]
	;; [unrolled: 1-line block ×5, first 2 shown]
	v_pk_mov_b32 v[66:67], v[38:39], v[38:39] op_sel:[0,1]
	v_cmp_neq_f64_e64 s[0:1], |v[50:51]|, s[36:37]
	v_fma_f64 v[56:57], v[54:55], v[56:57], v[36:37]
	v_cndmask_b32_e64 v49, 0, v49, s[0:1]
	v_cndmask_b32_e64 v48, 0, v48, s[0:1]
	v_fmac_f64_e32 v[66:67], v[54:55], v[56:57]
	v_pk_mov_b32 v[64:65], v[40:41], v[40:41] op_sel:[0,1]
	v_add_co_u32_e64 v6, s[0:1], s55, v6
	v_fmac_f64_e32 v[64:65], v[54:55], v[66:67]
	v_pk_mov_b32 v[56:57], v[42:43], v[42:43] op_sel:[0,1]
	v_addc_co_u32_e64 v7, s[0:1], 0, v7, s[0:1]
	v_mov_b32_e32 v3, s18
	v_fmac_f64_e32 v[56:57], v[54:55], v[64:65]
	v_mov_b32_e32 v64, s51
	v_add_co_u32_e64 v4, s[0:1], s53, v4
	v_mov_b32_e32 v65, s2
	v_addc_co_u32_e64 v1, s[0:1], v1, v64, s[0:1]
	v_cndmask_b32_e32 v65, v65, v60, vcc
	v_cndmask_b32_e64 v64, v3, 0, vcc
	v_cmp_neq_f64_e32 vcc, v[44:45], v[64:65]
	v_cmp_gt_f64_e64 s[4:5], 1.0, v[46:47]
	s_xor_b64 s[4:5], vcc, s[4:5]
	v_fma_f64 v[56:57], v[54:55], v[56:57], 1.0
	v_cmp_gt_f64_e64 s[2:3], 0, v[44:45]
	v_cmp_eq_f64_e64 s[10:11], 0, v[46:47]
	v_cndmask_b32_e64 v3, v65, 0, s[4:5]
	v_fma_f64 v[54:55], v[54:55], v[56:57], 1.0
	v_cndmask_b32_e64 v57, v64, 0, s[4:5]
	v_cmp_eq_f64_e32 vcc, 1.0, v[46:47]
	v_cvt_i32_f64_e32 v52, v[52:53]
	s_xor_b64 s[2:3], s[2:3], s[10:11]
	v_cndmask_b32_e32 v57, v57, v46, vcc
	v_cndmask_b32_e32 v3, v3, v47, vcc
	v_ldexp_f64 v[52:53], v[54:55], v52
	v_cmp_lt_f64_e32 vcc, s[46:47], v[50:51]
	v_cndmask_b32_e64 v56, v62, 0, s[2:3]
	v_cndmask_b32_e32 v54, v53, v62, vcc
	v_and_b32_e32 v53, 0x7fffffff, v53
	v_cndmask_b32_e64 v55, v52, 0, vcc
	v_cmp_ngt_f64_e64 s[2:3], s[48:49], v[50:51]
	v_cmp_eq_f64_e64 s[4:5], s[36:37], v[52:53]
	v_cndmask_b32_e64 v51, 0, v54, s[2:3]
	v_cndmask_b32_e64 v50, 0, v55, s[2:3]
	v_pk_mov_b32 v[52:53], v[50:51], v[50:51] op_sel:[0,1]
	s_or_b64 s[4:5], vcc, s[4:5]
	v_fmac_f64_e32 v[52:53], v[52:53], v[48:49]
	s_and_b64 vcc, s[2:3], s[4:5]
	v_cndmask_b32_e32 v48, v53, v51, vcc
	v_cmp_eq_f64_e64 s[8:9], s[36:37], v[46:47]
	v_cndmask_b32_e32 v49, v52, v50, vcc
	v_cmp_eq_f64_e32 vcc, s[36:37], v[64:65]
	v_and_b32_e32 v48, 0x7fffffff, v48
	v_cndmask_b32_e32 v49, v49, v57, vcc
	v_cndmask_b32_e32 v3, v48, v3, vcc
	s_or_b64 vcc, s[8:9], s[10:11]
	v_cndmask_b32_e32 v3, v3, v56, vcc
	v_cndmask_b32_e64 v48, v49, 0, vcc
	v_cmp_o_f64_e32 vcc, v[46:47], v[44:45]
	v_cmp_le_u64_e64 s[0:1], s[14:15], v[6:7]
	v_cndmask_b32_e32 v44, 0, v48, vcc
	v_cndmask_b32_e32 v45, v63, v3, vcc
	s_or_b64 s[16:17], s[0:1], s[16:17]
	v_add_f64 v[8:9], v[8:9], v[44:45]
	s_andn2_b64 exec, exec, s[16:17]
	s_cbranch_execnz .LBB0_8
; %bb.9:
	s_or_b64 exec, exec, s[16:17]
.LBB0_10:
	s_or_b64 exec, exec, s[24:25]
	v_mbcnt_lo_u32_b32 v1, -1, 0
	v_mbcnt_hi_u32_b32 v12, -1, v1
	v_and_b32_e32 v14, 63, v12
	v_cmp_gt_u32_e32 vcc, 32, v14
	v_cndmask_b32_e64 v1, 0, 1, vcc
	v_lshlrev_b32_e32 v1, 5, v1
	v_add_lshl_u32 v1, v1, v12, 2
	ds_bpermute_b32 v2, v1, v8
	ds_bpermute_b32 v3, v1, v9
	v_cmp_gt_u32_e32 vcc, 48, v14
	v_cndmask_b32_e64 v4, 0, 1, vcc
	v_lshlrev_b32_e32 v4, 4, v4
	v_add_lshl_u32 v6, v4, v12, 2
	s_waitcnt lgkmcnt(0)
	v_add_f64 v[2:3], v[8:9], v[2:3]
	ds_bpermute_b32 v4, v6, v2
	ds_bpermute_b32 v5, v6, v3
	v_cmp_gt_u32_e32 vcc, 56, v14
	v_and_b32_e32 v13, 63, v0
	s_waitcnt lgkmcnt(0)
	s_barrier
	v_add_f64 v[2:3], v[2:3], v[4:5]
	v_cndmask_b32_e64 v4, 0, 1, vcc
	v_lshlrev_b32_e32 v4, 3, v4
	v_add_lshl_u32 v7, v4, v12, 2
	ds_bpermute_b32 v4, v7, v2
	ds_bpermute_b32 v5, v7, v3
	v_cmp_gt_u32_e32 vcc, 60, v14
	s_waitcnt lgkmcnt(0)
	v_add_f64 v[2:3], v[2:3], v[4:5]
	v_cndmask_b32_e64 v4, 0, 1, vcc
	v_lshlrev_b32_e32 v4, 2, v4
	v_add_lshl_u32 v10, v4, v12, 2
	ds_bpermute_b32 v4, v10, v2
	ds_bpermute_b32 v5, v10, v3
	v_cmp_gt_u32_e32 vcc, 62, v14
	s_waitcnt lgkmcnt(0)
	v_add_f64 v[2:3], v[2:3], v[4:5]
	v_cndmask_b32_e64 v4, 0, 1, vcc
	v_lshlrev_b32_e32 v4, 1, v4
	v_add_lshl_u32 v11, v4, v12, 2
	ds_bpermute_b32 v4, v11, v2
	ds_bpermute_b32 v5, v11, v3
	v_cmp_ne_u32_e32 vcc, 63, v14
	s_waitcnt lgkmcnt(0)
	v_add_f64 v[2:3], v[2:3], v[4:5]
	v_addc_co_u32_e32 v4, vcc, 0, v12, vcc
	v_lshlrev_b32_e32 v12, 2, v4
	ds_bpermute_b32 v4, v12, v2
	ds_bpermute_b32 v5, v12, v3
	v_cmp_eq_u32_e32 vcc, 0, v13
	s_and_saveexec_b64 s[0:1], vcc
	s_cbranch_execz .LBB0_12
; %bb.11:
	v_lshrrev_b32_e32 v8, 3, v0
	s_waitcnt lgkmcnt(0)
	v_add_f64 v[2:3], v[2:3], v[4:5]
	ds_write_b64 v8, v[2:3]
.LBB0_12:
	s_or_b64 exec, exec, s[0:1]
	s_lshr_b32 s0, s33, 6
	v_cmp_gt_u32_e32 vcc, s0, v0
	v_pk_mov_b32 v[8:9], 0, 0
	s_waitcnt lgkmcnt(0)
	s_barrier
	s_and_saveexec_b64 s[0:1], vcc
	s_cbranch_execnz .LBB0_16
; %bb.13:
	s_or_b64 exec, exec, s[0:1]
	v_cmp_gt_u32_e32 vcc, 64, v0
	s_and_saveexec_b64 s[0:1], vcc
	s_cbranch_execnz .LBB0_17
.LBB0_14:
	s_or_b64 exec, exec, s[0:1]
	v_cmp_eq_u32_e32 vcc, 0, v0
	s_and_saveexec_b64 s[0:1], vcc
	s_cbranch_execnz .LBB0_18
.LBB0_15:
	s_endpgm
.LBB0_16:
	v_lshlrev_b32_e32 v2, 3, v13
	ds_read_b64 v[8:9], v2
	s_or_b64 exec, exec, s[0:1]
	v_cmp_gt_u32_e32 vcc, 64, v0
	s_and_saveexec_b64 s[0:1], vcc
	s_cbranch_execz .LBB0_14
.LBB0_17:
	s_waitcnt lgkmcnt(0)
	ds_bpermute_b32 v2, v1, v8
	ds_bpermute_b32 v3, v1, v9
	s_waitcnt lgkmcnt(0)
	v_add_f64 v[2:3], v[8:9], v[2:3]
	ds_bpermute_b32 v4, v6, v2
	ds_bpermute_b32 v5, v6, v3
	s_waitcnt lgkmcnt(0)
	v_add_f64 v[2:3], v[2:3], v[4:5]
	;; [unrolled: 4-line block ×6, first 2 shown]
	s_or_b64 exec, exec, s[0:1]
	v_cmp_eq_u32_e32 vcc, 0, v0
	s_and_saveexec_b64 s[0:1], vcc
	s_cbranch_execz .LBB0_15
.LBB0_18:
	v_div_scale_f64 v[0:1], s[0:1], s[18:19], s[18:19], 1.0
	v_rcp_f64_e32 v[2:3], v[0:1]
	v_div_scale_f64 v[4:5], vcc, 1.0, s[18:19], 1.0
	v_mov_b32_e32 v10, 0x3ff00000
	v_fma_f64 v[6:7], -v[0:1], v[2:3], 1.0
	v_fmac_f64_e32 v[2:3], v[2:3], v[6:7]
	v_fma_f64 v[6:7], -v[0:1], v[2:3], 1.0
	v_fmac_f64_e32 v[2:3], v[2:3], v[6:7]
	v_mul_f64 v[6:7], v[4:5], v[2:3]
	v_fma_f64 v[0:1], -v[0:1], v[6:7], v[4:5]
	v_div_fmas_f64 v[0:1], v[0:1], v[2:3], v[6:7]
	v_div_fixup_f64 v[6:7], v[0:1], s[18:19], 1.0
	s_waitcnt lgkmcnt(0)
	v_cmp_eq_f64_e32 vcc, 1.0, v[8:9]
	v_cndmask_b32_e32 v3, v7, v10, vcc
	v_cndmask_b32_e64 v2, v6, 0, vcc
	v_cmp_eq_f64_e64 s[0:1], 0, v[2:3]
	v_and_b32_e32 v1, 0x7fffffff, v9
	v_cndmask_b32_e64 v5, v9, v10, s[0:1]
	v_cndmask_b32_e64 v4, v8, 0, s[0:1]
	;; [unrolled: 1-line block ×4, first 2 shown]
	v_frexp_mant_f64_e32 v[12:13], v[8:9]
	s_mov_b32 s3, 0x3fe55555
	s_mov_b32 s2, 0x55555555
	v_cmp_gt_f64_e64 s[0:1], s[2:3], v[12:13]
	v_mov_b32_e32 v0, 0
	v_cndmask_b32_e64 v1, v10, 2.0, s[0:1]
	v_mul_f64 v[12:13], v[12:13], v[0:1]
	v_add_f64 v[14:15], v[12:13], 1.0
	v_rcp_f64_e32 v[16:17], v[14:15]
	v_add_f64 v[20:21], v[14:15], -1.0
	v_add_f64 v[18:19], v[12:13], -1.0
	v_add_f64 v[12:13], v[12:13], -v[20:21]
	v_fma_f64 v[20:21], -v[14:15], v[16:17], 1.0
	v_fmac_f64_e32 v[16:17], v[20:21], v[16:17]
	v_fma_f64 v[20:21], -v[14:15], v[16:17], 1.0
	v_fmac_f64_e32 v[16:17], v[20:21], v[16:17]
	v_mul_f64 v[20:21], v[18:19], v[16:17]
	v_mul_f64 v[22:23], v[14:15], v[20:21]
	v_fma_f64 v[14:15], v[20:21], v[14:15], -v[22:23]
	v_fmac_f64_e32 v[14:15], v[20:21], v[12:13]
	v_add_f64 v[12:13], v[22:23], v[14:15]
	v_add_f64 v[24:25], v[18:19], -v[12:13]
	v_add_f64 v[22:23], v[12:13], -v[22:23]
	;; [unrolled: 1-line block ×5, first 2 shown]
	v_add_f64 v[12:13], v[14:15], v[12:13]
	v_add_f64 v[12:13], v[24:25], v[12:13]
	v_mul_f64 v[12:13], v[16:17], v[12:13]
	v_add_f64 v[14:15], v[20:21], v[12:13]
	v_add_f64 v[16:17], v[14:15], -v[20:21]
	v_add_f64 v[12:13], v[12:13], -v[16:17]
	v_mul_f64 v[16:17], v[14:15], v[14:15]
	v_fma_f64 v[18:19], v[14:15], v[14:15], -v[16:17]
	v_add_f64 v[20:21], v[12:13], v[12:13]
	v_frexp_exp_i32_f64_e32 v11, v[8:9]
	v_fmac_f64_e32 v[18:19], v[14:15], v[20:21]
	v_subbrev_co_u32_e64 v1, s[0:1], 0, v11, s[0:1]
	v_add_f64 v[20:21], v[16:17], v[18:19]
	v_add_f64 v[16:17], v[20:21], -v[16:17]
	s_mov_b32 s0, 0x4222de17
	v_add_f64 v[16:17], v[18:19], -v[16:17]
	v_mov_b32_e32 v18, 0x968915a9
	v_mov_b32_e32 v19, 0x3fba6564
	s_mov_b32 s1, 0x3fbdee67
	v_fmac_f64_e32 v[18:19], s[0:1], v[20:21]
	v_mov_b32_e32 v22, 0x3abe935a
	v_mov_b32_e32 v23, 0x3fbe25e4
	v_fmac_f64_e32 v[22:23], v[20:21], v[18:19]
	v_mov_b32_e32 v18, 0x47e6c9c2
	v_mov_b32_e32 v19, 0x3fc110ef
	;; [unrolled: 3-line block ×7, first 2 shown]
	v_fmac_f64_e32 v[22:23], v[20:21], v[18:19]
	v_cvt_f64_i32_e32 v[18:19], v1
	s_mov_b32 s5, 0x3fe62e42
	s_mov_b32 s4, 0xfefa39ef
	v_mul_f64 v[24:25], v[18:19], s[4:5]
	v_mul_f64 v[30:31], v[14:15], v[20:21]
	v_fma_f64 v[26:27], v[18:19], s[4:5], -v[24:25]
	s_mov_b32 s11, 0x3c7abc9e
	s_mov_b32 s10, 0x3b39803f
	v_fma_f64 v[32:33], v[20:21], v[14:15], -v[30:31]
	v_fmac_f64_e32 v[26:27], s[10:11], v[18:19]
	v_fmac_f64_e32 v[32:33], v[20:21], v[12:13]
	v_add_f64 v[18:19], v[24:25], v[26:27]
	v_fmac_f64_e32 v[32:33], v[16:17], v[14:15]
	v_add_f64 v[24:25], v[18:19], -v[24:25]
	v_ldexp_f64 v[28:29], v[12:13], 1
	v_add_f64 v[12:13], v[30:31], v[32:33]
	v_add_f64 v[24:25], v[26:27], -v[24:25]
	v_ldexp_f64 v[26:27], v[14:15], 1
	v_add_f64 v[14:15], v[12:13], -v[30:31]
	v_mul_f64 v[30:31], v[20:21], v[22:23]
	v_fma_f64 v[20:21], v[20:21], v[22:23], -v[30:31]
	v_fmac_f64_e32 v[20:21], v[16:17], v[22:23]
	v_add_f64 v[16:17], v[30:31], v[20:21]
	v_add_f64 v[22:23], v[16:17], -v[30:31]
	v_add_f64 v[20:21], v[20:21], -v[22:23]
	v_add_f64 v[22:23], v[16:17], s[2:3]
	s_mov_b32 s3, 0xbfe55555
	s_mov_b32 s0, 0xd5df274d
	v_add_f64 v[30:31], v[22:23], s[2:3]
	s_mov_b32 s1, 0x3c8543b0
	v_add_f64 v[16:17], v[16:17], -v[30:31]
	v_add_f64 v[20:21], v[20:21], s[0:1]
	v_add_f64 v[16:17], v[20:21], v[16:17]
	v_add_f64 v[20:21], v[22:23], v[16:17]
	v_add_f64 v[22:23], v[22:23], -v[20:21]
	v_add_f64 v[16:17], v[16:17], v[22:23]
	v_mul_f64 v[22:23], v[12:13], v[20:21]
	v_fma_f64 v[30:31], v[12:13], v[20:21], -v[22:23]
	v_add_f64 v[14:15], v[32:33], -v[14:15]
	v_fmac_f64_e32 v[30:31], v[12:13], v[16:17]
	v_fmac_f64_e32 v[30:31], v[14:15], v[20:21]
	v_add_f64 v[12:13], v[22:23], v[30:31]
	v_add_f64 v[14:15], v[12:13], -v[22:23]
	v_add_f64 v[16:17], v[26:27], v[12:13]
	v_add_f64 v[14:15], v[30:31], -v[14:15]
	v_add_f64 v[20:21], v[16:17], -v[26:27]
	;; [unrolled: 1-line block ×3, first 2 shown]
	v_add_f64 v[14:15], v[28:29], v[14:15]
	v_add_f64 v[12:13], v[14:15], v[12:13]
	;; [unrolled: 1-line block ×3, first 2 shown]
	v_add_f64 v[16:17], v[14:15], -v[16:17]
	v_add_f64 v[12:13], v[12:13], -v[16:17]
	v_add_f64 v[16:17], v[18:19], v[14:15]
	v_add_f64 v[20:21], v[16:17], -v[18:19]
	v_add_f64 v[22:23], v[16:17], -v[20:21]
	;; [unrolled: 1-line block ×4, first 2 shown]
	v_add_f64 v[14:15], v[14:15], v[18:19]
	v_add_f64 v[18:19], v[24:25], v[12:13]
	v_add_f64 v[20:21], v[18:19], -v[24:25]
	v_add_f64 v[14:15], v[18:19], v[14:15]
	v_add_f64 v[22:23], v[18:19], -v[20:21]
	;; [unrolled: 2-line block ×3, first 2 shown]
	v_add_f64 v[12:13], v[12:13], -v[20:21]
	v_add_f64 v[16:17], v[18:19], -v[16:17]
	v_add_f64 v[12:13], v[12:13], v[22:23]
	v_add_f64 v[14:15], v[14:15], -v[16:17]
	v_add_f64 v[12:13], v[12:13], v[14:15]
	v_add_f64 v[14:15], v[18:19], v[12:13]
	v_add_f64 v[16:17], v[14:15], -v[18:19]
	v_add_f64 v[12:13], v[12:13], -v[16:17]
	v_mul_f64 v[16:17], v[2:3], v[14:15]
	v_fma_f64 v[14:15], v[2:3], v[14:15], -v[16:17]
	v_fmac_f64_e32 v[14:15], v[2:3], v[12:13]
	s_movk_i32 s0, 0x204
	v_add_f64 v[12:13], v[16:17], v[14:15]
	v_cmp_class_f64_e64 s[0:1], v[16:17], s0
	s_mov_b32 s8, 0
	v_add_f64 v[18:19], v[12:13], -v[16:17]
	v_cndmask_b32_e64 v13, v13, v17, s[0:1]
	v_cndmask_b32_e64 v12, v12, v16, s[0:1]
	s_mov_b32 s9, 0x7ff00000
	v_add_f64 v[14:15], v[14:15], -v[18:19]
	v_cmp_neq_f64_e64 s[0:1], |v[12:13]|, s[8:9]
	v_cndmask_b32_e64 v15, 0, v15, s[0:1]
	v_cndmask_b32_e64 v14, 0, v14, s[0:1]
	s_mov_b32 s0, 0x652b82fe
	s_mov_b32 s1, 0x3ff71547
	v_mul_f64 v[16:17], v[12:13], s[0:1]
	v_rndne_f64_e32 v[16:17], v[16:17]
	s_mov_b32 s5, 0xbfe62e42
	v_fma_f64 v[18:19], s[4:5], v[16:17], v[12:13]
	s_mov_b32 s11, 0xbc7abc9e
	s_mov_b32 s0, 0x6a5dcb37
	v_fmac_f64_e32 v[18:19], s[10:11], v[16:17]
	v_mov_b32_e32 v20, 0xfca7ab0c
	v_mov_b32_e32 v21, 0x3e928af3
	s_mov_b32 s1, 0x3e5ade15
	v_fmac_f64_e32 v[20:21], s[0:1], v[18:19]
	v_mov_b32_e32 v22, 0x623fde64
	v_mov_b32_e32 v23, 0x3ec71dee
	v_fmac_f64_e32 v[22:23], v[18:19], v[20:21]
	v_mov_b32_e32 v20, 0x7c89e6b0
	v_mov_b32_e32 v21, 0x3efa0199
	;; [unrolled: 3-line block ×8, first 2 shown]
	v_fmac_f64_e32 v[20:21], v[18:19], v[22:23]
	v_fma_f64 v[20:21], v[18:19], v[20:21], 1.0
	s_mov_b32 s0, 0
	v_fma_f64 v[18:19], v[18:19], v[20:21], 1.0
	v_cvt_i32_f64_e32 v1, v[16:17]
	s_mov_b32 s1, 0x40900000
	s_mov_b32 s2, 0
	v_ldexp_f64 v[16:17], v[18:19], v1
	v_cmp_lt_f64_e64 s[0:1], s[0:1], v[12:13]
	v_mov_b32_e32 v11, 0x7ff00000
	s_mov_b32 s3, 0xc090cc00
	v_cndmask_b32_e64 v1, v16, 0, s[0:1]
	v_cndmask_b32_e64 v18, v17, v11, s[0:1]
	v_cmp_ngt_f64_e64 s[2:3], s[2:3], v[12:13]
	v_and_b32_e32 v17, 0x7fffffff, v17
	v_cndmask_b32_e64 v13, 0, v18, s[2:3]
	v_cndmask_b32_e64 v12, 0, v1, s[2:3]
	v_cmp_eq_f64_e64 s[4:5], s[8:9], v[16:17]
	v_pk_mov_b32 v[18:19], v[12:13], v[12:13] op_sel:[0,1]
	s_or_b64 s[0:1], s[0:1], s[4:5]
	v_fmac_f64_e32 v[18:19], v[18:19], v[14:15]
	s_and_b64 s[0:1], s[2:3], s[0:1]
	v_mul_f64 v[14:15], v[2:3], 0.5
	v_cndmask_b32_e64 v1, v18, v12, s[0:1]
	v_cndmask_b32_e64 v18, v19, v13, s[0:1]
	v_trunc_f64_e32 v[12:13], v[2:3]
	v_trunc_f64_e32 v[16:17], v[14:15]
	v_cmp_neq_f64_e64 s[0:1], v[16:17], v[14:15]
	v_cmp_eq_f64_e64 s[2:3], v[12:13], v[2:3]
	s_and_b64 s[0:1], s[2:3], s[0:1]
	s_brev_b32 s14, -2
	v_cndmask_b32_e64 v13, v10, v5, s[0:1]
	v_bfi_b32 v13, s14, v18, v13
	v_mov_b32_e32 v14, 0x7ff80000
	v_and_b32_e32 v7, 0x7fffffff, v7
	v_cndmask_b32_e64 v12, 0, v1, s[2:3]
	v_cndmask_b32_e64 v15, v14, v13, s[2:3]
	v_cmp_gt_f64_e64 s[2:3], 0, v[4:5]
	v_cndmask_b32_e32 v7, v7, v10, vcc
	v_cndmask_b32_e64 v6, v6, 0, vcc
	v_cndmask_b32_e64 v13, v13, v15, s[2:3]
	v_cndmask_b32_e64 v1, v1, v12, s[2:3]
	v_cmp_neq_f64_e32 vcc, v[2:3], v[6:7]
	v_cmp_gt_f64_e64 s[2:3], 1.0, v[8:9]
	s_xor_b64 s[2:3], vcc, s[2:3]
	v_cndmask_b32_e64 v10, v6, 0, s[2:3]
	v_cndmask_b32_e64 v12, v7, 0, s[2:3]
	v_cmp_eq_f64_e32 vcc, 1.0, v[8:9]
	v_cmp_eq_f64_e64 s[2:3], 0, v[4:5]
	v_cmp_gt_f64_e64 s[4:5], 0, v[2:3]
	v_cndmask_b32_e32 v12, v12, v9, vcc
	v_cndmask_b32_e32 v10, v10, v8, vcc
	v_cmp_eq_f64_e32 vcc, s[8:9], v[6:7]
	s_xor_b64 s[4:5], s[4:5], s[2:3]
	v_cndmask_b32_e32 v1, v1, v10, vcc
	v_cndmask_b32_e32 v6, v13, v12, vcc
	v_cmp_eq_f64_e32 vcc, s[8:9], v[8:9]
	v_cndmask_b32_e64 v7, v11, 0, s[4:5]
	v_cndmask_b32_e64 v8, 0, v5, s[0:1]
	v_bfi_b32 v7, s14, v7, v8
	s_or_b64 vcc, vcc, s[2:3]
	s_lshl_b64 s[0:1], s[6:7], 3
	v_cndmask_b32_e32 v6, v6, v7, vcc
	v_cndmask_b32_e64 v1, v1, 0, vcc
	v_cmp_o_f64_e32 vcc, v[4:5], v[2:3]
	s_add_u32 s0, s12, s0
	v_cndmask_b32_e32 v2, 0, v1, vcc
	v_cndmask_b32_e32 v3, v14, v6, vcc
	s_addc_u32 s1, s13, s1
	global_store_dwordx2 v0, v[2:3], s[0:1]
	s_endpgm
.LBB0_19:
                                        ; implicit-def: $sgpr2_sgpr3
	s_branch .LBB0_2
.LBB0_20:
                                        ; implicit-def: $sgpr0_sgpr1
	s_branch .LBB0_5
	.section	.rodata,"a",@progbits
	.p2align	6, 0x0
	.amdhsa_kernel _ZN2at6native12_GLOBAL__N_122cdist_kernel_cuda_implIdNS1_5distsIdE1pEEEvPT_PKS6_S9_S6_lllll
		.amdhsa_group_segment_fixed_size 2048
		.amdhsa_private_segment_fixed_size 0
		.amdhsa_kernarg_size 328
		.amdhsa_user_sgpr_count 6
		.amdhsa_user_sgpr_private_segment_buffer 1
		.amdhsa_user_sgpr_dispatch_ptr 0
		.amdhsa_user_sgpr_queue_ptr 0
		.amdhsa_user_sgpr_kernarg_segment_ptr 1
		.amdhsa_user_sgpr_dispatch_id 0
		.amdhsa_user_sgpr_flat_scratch_init 0
		.amdhsa_user_sgpr_kernarg_preload_length 0
		.amdhsa_user_sgpr_kernarg_preload_offset 0
		.amdhsa_user_sgpr_private_segment_size 0
		.amdhsa_uses_dynamic_stack 0
		.amdhsa_system_sgpr_private_segment_wavefront_offset 0
		.amdhsa_system_sgpr_workgroup_id_x 1
		.amdhsa_system_sgpr_workgroup_id_y 0
		.amdhsa_system_sgpr_workgroup_id_z 0
		.amdhsa_system_sgpr_workgroup_info 0
		.amdhsa_system_vgpr_workitem_id 0
		.amdhsa_next_free_vgpr 72
		.amdhsa_next_free_sgpr 56
		.amdhsa_accum_offset 72
		.amdhsa_reserve_vcc 1
		.amdhsa_reserve_flat_scratch 0
		.amdhsa_float_round_mode_32 0
		.amdhsa_float_round_mode_16_64 0
		.amdhsa_float_denorm_mode_32 3
		.amdhsa_float_denorm_mode_16_64 3
		.amdhsa_dx10_clamp 1
		.amdhsa_ieee_mode 1
		.amdhsa_fp16_overflow 0
		.amdhsa_tg_split 0
		.amdhsa_exception_fp_ieee_invalid_op 0
		.amdhsa_exception_fp_denorm_src 0
		.amdhsa_exception_fp_ieee_div_zero 0
		.amdhsa_exception_fp_ieee_overflow 0
		.amdhsa_exception_fp_ieee_underflow 0
		.amdhsa_exception_fp_ieee_inexact 0
		.amdhsa_exception_int_div_zero 0
	.end_amdhsa_kernel
	.section	.text._ZN2at6native12_GLOBAL__N_122cdist_kernel_cuda_implIdNS1_5distsIdE1pEEEvPT_PKS6_S9_S6_lllll,"axG",@progbits,_ZN2at6native12_GLOBAL__N_122cdist_kernel_cuda_implIdNS1_5distsIdE1pEEEvPT_PKS6_S9_S6_lllll,comdat
.Lfunc_end0:
	.size	_ZN2at6native12_GLOBAL__N_122cdist_kernel_cuda_implIdNS1_5distsIdE1pEEEvPT_PKS6_S9_S6_lllll, .Lfunc_end0-_ZN2at6native12_GLOBAL__N_122cdist_kernel_cuda_implIdNS1_5distsIdE1pEEEvPT_PKS6_S9_S6_lllll
                                        ; -- End function
	.section	.AMDGPU.csdata,"",@progbits
; Kernel info:
; codeLenInByte = 6192
; NumSgprs: 60
; NumVgprs: 72
; NumAgprs: 0
; TotalNumVgprs: 72
; ScratchSize: 0
; MemoryBound: 0
; FloatMode: 240
; IeeeMode: 1
; LDSByteSize: 2048 bytes/workgroup (compile time only)
; SGPRBlocks: 7
; VGPRBlocks: 8
; NumSGPRsForWavesPerEU: 60
; NumVGPRsForWavesPerEU: 72
; AccumOffset: 72
; Occupancy: 7
; WaveLimiterHint : 0
; COMPUTE_PGM_RSRC2:SCRATCH_EN: 0
; COMPUTE_PGM_RSRC2:USER_SGPR: 6
; COMPUTE_PGM_RSRC2:TRAP_HANDLER: 0
; COMPUTE_PGM_RSRC2:TGID_X_EN: 1
; COMPUTE_PGM_RSRC2:TGID_Y_EN: 0
; COMPUTE_PGM_RSRC2:TGID_Z_EN: 0
; COMPUTE_PGM_RSRC2:TIDIG_COMP_CNT: 0
; COMPUTE_PGM_RSRC3_GFX90A:ACCUM_OFFSET: 17
; COMPUTE_PGM_RSRC3_GFX90A:TG_SPLIT: 0
	.section	.text._ZN2at6native12_GLOBAL__N_122cdist_kernel_cuda_implIdNS1_5distsIdE4zeroEEEvPT_PKS6_S9_S6_lllll,"axG",@progbits,_ZN2at6native12_GLOBAL__N_122cdist_kernel_cuda_implIdNS1_5distsIdE4zeroEEEvPT_PKS6_S9_S6_lllll,comdat
	.globl	_ZN2at6native12_GLOBAL__N_122cdist_kernel_cuda_implIdNS1_5distsIdE4zeroEEEvPT_PKS6_S9_S6_lllll ; -- Begin function _ZN2at6native12_GLOBAL__N_122cdist_kernel_cuda_implIdNS1_5distsIdE4zeroEEEvPT_PKS6_S9_S6_lllll
	.p2align	8
	.type	_ZN2at6native12_GLOBAL__N_122cdist_kernel_cuda_implIdNS1_5distsIdE4zeroEEEvPT_PKS6_S9_S6_lllll,@function
_ZN2at6native12_GLOBAL__N_122cdist_kernel_cuda_implIdNS1_5distsIdE4zeroEEEvPT_PKS6_S9_S6_lllll: ; @_ZN2at6native12_GLOBAL__N_122cdist_kernel_cuda_implIdNS1_5distsIdE4zeroEEEvPT_PKS6_S9_S6_lllll
; %bb.0:
	s_load_dwordx8 s[8:15], s[4:5], 0x20
	s_load_dwordx2 s[16:17], s[4:5], 0x40
	s_mov_b32 s7, 0
	s_mov_b32 s0, s7
	s_waitcnt lgkmcnt(0)
	s_mov_b32 s1, s13
	s_cmp_lg_u64 s[0:1], 0
	s_cbranch_scc0 .LBB1_23
; %bb.1:
	s_ashr_i32 s2, s13, 31
	s_add_u32 s0, s12, s2
	s_mov_b32 s3, s2
	s_addc_u32 s1, s13, s2
	s_xor_b64 s[18:19], s[0:1], s[2:3]
	v_cvt_f32_u32_e32 v1, s18
	v_cvt_f32_u32_e32 v2, s19
	s_sub_u32 s0, 0, s18
	s_subb_u32 s1, 0, s19
	v_madmk_f32 v1, v2, 0x4f800000, v1
	v_rcp_f32_e32 v1, v1
	v_mul_f32_e32 v1, 0x5f7ffffc, v1
	v_mul_f32_e32 v2, 0x2f800000, v1
	v_trunc_f32_e32 v2, v2
	v_madmk_f32 v1, v2, 0xcf800000, v1
	v_cvt_u32_f32_e32 v2, v2
	v_cvt_u32_f32_e32 v1, v1
	v_readfirstlane_b32 s22, v2
	v_readfirstlane_b32 s23, v1
	s_mul_i32 s24, s0, s22
	s_mul_hi_u32 s26, s0, s23
	s_mul_i32 s25, s1, s23
	s_add_i32 s24, s26, s24
	s_add_i32 s24, s24, s25
	s_mul_i32 s27, s0, s23
	s_mul_hi_u32 s25, s23, s24
	s_mul_i32 s26, s23, s24
	s_mul_hi_u32 s23, s23, s27
	s_add_u32 s23, s23, s26
	s_addc_u32 s25, 0, s25
	s_mul_hi_u32 s28, s22, s27
	s_mul_i32 s27, s22, s27
	s_add_u32 s23, s23, s27
	s_mul_hi_u32 s26, s22, s24
	s_addc_u32 s23, s25, s28
	s_addc_u32 s25, s26, 0
	s_mul_i32 s24, s22, s24
	s_add_u32 s23, s23, s24
	s_addc_u32 s24, 0, s25
	v_add_co_u32_e32 v1, vcc, s23, v1
	s_cmp_lg_u64 vcc, 0
	s_addc_u32 s22, s22, s24
	v_readfirstlane_b32 s24, v1
	s_mul_i32 s23, s0, s22
	s_mul_hi_u32 s25, s0, s24
	s_add_i32 s23, s25, s23
	s_mul_i32 s1, s1, s24
	s_add_i32 s23, s23, s1
	s_mul_i32 s0, s0, s24
	s_mul_hi_u32 s25, s22, s0
	s_mul_i32 s26, s22, s0
	s_mul_i32 s28, s24, s23
	s_mul_hi_u32 s0, s24, s0
	s_mul_hi_u32 s27, s24, s23
	s_add_u32 s0, s0, s28
	s_addc_u32 s24, 0, s27
	s_add_u32 s0, s0, s26
	s_mul_hi_u32 s1, s22, s23
	s_addc_u32 s0, s24, s25
	s_addc_u32 s1, s1, 0
	s_mul_i32 s23, s22, s23
	s_add_u32 s0, s0, s23
	s_addc_u32 s1, 0, s1
	v_add_co_u32_e32 v1, vcc, s0, v1
	s_cmp_lg_u64 vcc, 0
	s_addc_u32 s0, s22, s1
	v_readfirstlane_b32 s22, v1
	s_mul_hi_u32 s1, s6, s0
	s_mul_i32 s0, s6, s0
	s_mul_hi_u32 s22, s6, s22
	s_add_u32 s0, s22, s0
	s_addc_u32 s1, 0, s1
	s_add_u32 s0, s0, 0
	s_addc_u32 s0, s1, 0
	s_addc_u32 s1, 0, 0
	s_add_u32 s22, s0, 0
	s_addc_u32 s23, 0, s1
	s_mul_i32 s0, s18, s23
	s_mul_hi_u32 s1, s18, s22
	s_add_i32 s0, s1, s0
	s_mul_i32 s1, s19, s22
	s_add_i32 s24, s0, s1
	s_mul_i32 s1, s18, s22
	v_mov_b32_e32 v1, s1
	s_sub_i32 s0, 0, s24
	v_sub_co_u32_e32 v1, vcc, s6, v1
	s_cmp_lg_u64 vcc, 0
	s_subb_u32 s25, s0, s19
	v_subrev_co_u32_e64 v2, s[0:1], s18, v1
	s_cmp_lg_u64 s[0:1], 0
	s_subb_u32 s0, s25, 0
	s_cmp_ge_u32 s0, s19
	v_readfirstlane_b32 s25, v2
	s_cselect_b32 s1, -1, 0
	s_cmp_ge_u32 s25, s18
	s_cselect_b32 s25, -1, 0
	s_cmp_eq_u32 s0, s19
	s_cselect_b32 s0, s25, s1
	s_add_u32 s1, s22, 1
	s_addc_u32 s25, s23, 0
	s_add_u32 s26, s22, 2
	s_addc_u32 s27, s23, 0
	s_cmp_lg_u32 s0, 0
	s_cselect_b32 s0, s26, s1
	s_cselect_b32 s1, s27, s25
	s_cmp_lg_u64 vcc, 0
	s_subb_u32 s24, 0, s24
	s_cmp_ge_u32 s24, s19
	v_readfirstlane_b32 s26, v1
	s_cselect_b32 s25, -1, 0
	s_cmp_ge_u32 s26, s18
	s_cselect_b32 s18, -1, 0
	s_cmp_eq_u32 s24, s19
	s_cselect_b32 s18, s18, s25
	s_cmp_lg_u32 s18, 0
	s_cselect_b32 s1, s1, s23
	s_cselect_b32 s0, s0, s22
	s_xor_b64 s[0:1], s[0:1], s[2:3]
	s_sub_u32 s18, s0, s2
	s_subb_u32 s19, s1, s2
	s_cbranch_execnz .LBB1_3
.LBB1_2:
	v_cvt_f32_u32_e32 v1, s12
	s_sub_i32 s0, 0, s12
	s_mov_b32 s19, 0
	v_rcp_iflag_f32_e32 v1, v1
	v_mul_f32_e32 v1, 0x4f7ffffe, v1
	v_cvt_u32_f32_e32 v1, v1
	v_readfirstlane_b32 s1, v1
	s_mul_i32 s0, s0, s1
	s_mul_hi_u32 s0, s1, s0
	s_add_i32 s1, s1, s0
	s_mul_hi_u32 s0, s6, s1
	s_mul_i32 s2, s0, s12
	s_sub_i32 s2, s6, s2
	s_add_i32 s1, s0, 1
	s_sub_i32 s3, s2, s12
	s_cmp_ge_u32 s2, s12
	s_cselect_b32 s0, s1, s0
	s_cselect_b32 s2, s3, s2
	s_add_i32 s1, s0, 1
	s_cmp_ge_u32 s2, s12
	s_cselect_b32 s18, s1, s0
.LBB1_3:
	s_mul_i32 s0, s18, s13
	s_mul_hi_u32 s1, s18, s12
	s_add_i32 s0, s1, s0
	s_mul_i32 s1, s19, s12
	s_add_i32 s0, s0, s1
	s_mul_i32 s1, s18, s12
	s_sub_u32 s12, s6, s1
	s_subb_u32 s13, 0, s0
	s_or_b64 s[0:1], s[12:13], s[8:9]
	s_mov_b32 s0, 0
	s_cmp_lg_u64 s[0:1], 0
	s_cbranch_scc0 .LBB1_24
; %bb.4:
	s_ashr_i32 s2, s9, 31
	s_add_u32 s0, s8, s2
	s_mov_b32 s3, s2
	s_addc_u32 s1, s9, s2
	s_xor_b64 s[22:23], s[0:1], s[2:3]
	v_cvt_f32_u32_e32 v1, s22
	v_cvt_f32_u32_e32 v2, s23
	s_sub_u32 s0, 0, s22
	s_subb_u32 s1, 0, s23
	v_madmk_f32 v1, v2, 0x4f800000, v1
	v_rcp_f32_e32 v1, v1
	v_mul_f32_e32 v1, 0x5f7ffffc, v1
	v_mul_f32_e32 v2, 0x2f800000, v1
	v_trunc_f32_e32 v2, v2
	v_madmk_f32 v1, v2, 0xcf800000, v1
	v_cvt_u32_f32_e32 v2, v2
	v_cvt_u32_f32_e32 v1, v1
	v_readfirstlane_b32 s24, v2
	v_readfirstlane_b32 s25, v1
	s_mul_i32 s26, s0, s24
	s_mul_hi_u32 s28, s0, s25
	s_mul_i32 s27, s1, s25
	s_add_i32 s26, s28, s26
	s_add_i32 s26, s26, s27
	s_mul_i32 s29, s0, s25
	s_mul_hi_u32 s27, s25, s26
	s_mul_i32 s28, s25, s26
	s_mul_hi_u32 s25, s25, s29
	s_add_u32 s25, s25, s28
	s_addc_u32 s27, 0, s27
	s_mul_hi_u32 s30, s24, s29
	s_mul_i32 s29, s24, s29
	s_add_u32 s25, s25, s29
	s_mul_hi_u32 s28, s24, s26
	s_addc_u32 s25, s27, s30
	s_addc_u32 s27, s28, 0
	s_mul_i32 s26, s24, s26
	s_add_u32 s25, s25, s26
	s_addc_u32 s26, 0, s27
	v_add_co_u32_e32 v1, vcc, s25, v1
	s_cmp_lg_u64 vcc, 0
	s_addc_u32 s24, s24, s26
	v_readfirstlane_b32 s26, v1
	s_mul_i32 s25, s0, s24
	s_mul_hi_u32 s27, s0, s26
	s_add_i32 s25, s27, s25
	s_mul_i32 s1, s1, s26
	s_add_i32 s25, s25, s1
	s_mul_i32 s0, s0, s26
	s_mul_hi_u32 s27, s24, s0
	s_mul_i32 s28, s24, s0
	s_mul_i32 s30, s26, s25
	s_mul_hi_u32 s0, s26, s0
	s_mul_hi_u32 s29, s26, s25
	s_add_u32 s0, s0, s30
	s_addc_u32 s26, 0, s29
	s_add_u32 s0, s0, s28
	s_mul_hi_u32 s1, s24, s25
	s_addc_u32 s0, s26, s27
	s_addc_u32 s1, s1, 0
	s_mul_i32 s25, s24, s25
	s_add_u32 s0, s0, s25
	s_addc_u32 s1, 0, s1
	v_add_co_u32_e32 v1, vcc, s0, v1
	s_cmp_lg_u64 vcc, 0
	s_addc_u32 s28, s24, s1
	s_ashr_i32 s24, s13, 31
	s_add_u32 s0, s12, s24
	s_mov_b32 s25, s24
	s_addc_u32 s1, s13, s24
	s_xor_b64 s[26:27], s[0:1], s[24:25]
	v_readfirstlane_b32 s29, v1
	s_mul_i32 s1, s26, s28
	s_mul_hi_u32 s30, s26, s29
	s_mul_hi_u32 s0, s26, s28
	s_add_u32 s1, s30, s1
	s_addc_u32 s0, 0, s0
	s_mul_hi_u32 s31, s27, s29
	s_mul_i32 s29, s27, s29
	s_add_u32 s1, s1, s29
	s_mul_hi_u32 s30, s27, s28
	s_addc_u32 s0, s0, s31
	s_addc_u32 s1, s30, 0
	s_mul_i32 s28, s27, s28
	s_add_u32 s28, s0, s28
	s_addc_u32 s29, 0, s1
	s_mul_i32 s0, s22, s29
	s_mul_hi_u32 s1, s22, s28
	s_add_i32 s0, s1, s0
	s_mul_i32 s1, s23, s28
	s_add_i32 s30, s0, s1
	s_mul_i32 s1, s22, s28
	v_mov_b32_e32 v1, s1
	s_sub_i32 s0, s27, s30
	v_sub_co_u32_e32 v1, vcc, s26, v1
	s_cmp_lg_u64 vcc, 0
	s_subb_u32 s26, s0, s23
	v_subrev_co_u32_e64 v2, s[0:1], s22, v1
	s_cmp_lg_u64 s[0:1], 0
	s_subb_u32 s0, s26, 0
	s_cmp_ge_u32 s0, s23
	v_readfirstlane_b32 s26, v2
	s_cselect_b32 s1, -1, 0
	s_cmp_ge_u32 s26, s22
	s_cselect_b32 s26, -1, 0
	s_cmp_eq_u32 s0, s23
	s_cselect_b32 s0, s26, s1
	s_add_u32 s1, s28, 1
	s_addc_u32 s26, s29, 0
	s_add_u32 s31, s28, 2
	s_addc_u32 s33, s29, 0
	s_cmp_lg_u32 s0, 0
	s_cselect_b32 s0, s31, s1
	s_cselect_b32 s1, s33, s26
	s_cmp_lg_u64 vcc, 0
	s_subb_u32 s26, s27, s30
	s_cmp_ge_u32 s26, s23
	v_readfirstlane_b32 s30, v1
	s_cselect_b32 s27, -1, 0
	s_cmp_ge_u32 s30, s22
	s_cselect_b32 s22, -1, 0
	s_cmp_eq_u32 s26, s23
	s_cselect_b32 s22, s22, s27
	s_cmp_lg_u32 s22, 0
	s_cselect_b32 s1, s1, s29
	s_cselect_b32 s0, s0, s28
	s_xor_b64 s[2:3], s[24:25], s[2:3]
	s_xor_b64 s[0:1], s[0:1], s[2:3]
	s_sub_u32 s22, s0, s2
	s_subb_u32 s23, s1, s3
	s_cbranch_execnz .LBB1_6
.LBB1_5:
	v_cvt_f32_u32_e32 v1, s8
	s_sub_i32 s0, 0, s8
	s_mov_b32 s23, 0
	v_rcp_iflag_f32_e32 v1, v1
	v_mul_f32_e32 v1, 0x4f7ffffe, v1
	v_cvt_u32_f32_e32 v1, v1
	v_readfirstlane_b32 s1, v1
	s_mul_i32 s0, s0, s1
	s_mul_hi_u32 s0, s1, s0
	s_add_i32 s1, s1, s0
	s_mul_hi_u32 s0, s12, s1
	s_mul_i32 s2, s0, s8
	s_sub_i32 s2, s12, s2
	s_add_i32 s1, s0, 1
	s_sub_i32 s3, s2, s8
	s_cmp_ge_u32 s2, s8
	s_cselect_b32 s0, s1, s0
	s_cselect_b32 s2, s3, s2
	s_add_i32 s1, s0, 1
	s_cmp_ge_u32 s2, s8
	s_cselect_b32 s22, s1, s0
.LBB1_6:
	s_load_dword s24, s[4:5], 0x54
	s_load_dwordx4 s[0:3], s[4:5], 0x0
	s_load_dwordx2 s[20:21], s[4:5], 0x10
	v_mov_b32_e32 v1, 0
	v_cmp_gt_i64_e32 vcc, s[10:11], v[0:1]
	s_waitcnt lgkmcnt(0)
	s_and_b32 s24, s24, 0xffff
	v_pk_mov_b32 v[6:7], 0, 0
	s_and_saveexec_b64 s[4:5], vcc
	s_cbranch_execz .LBB1_14
; %bb.7:
	s_mul_i32 s15, s18, s15
	s_mul_hi_u32 s25, s18, s14
	s_add_i32 s15, s25, s15
	s_mul_i32 s25, s19, s14
	s_add_i32 s15, s15, s25
	s_mul_i32 s14, s18, s14
	s_lshl_b64 s[14:15], s[14:15], 3
	s_add_u32 s14, s2, s14
	s_addc_u32 s15, s3, s15
	s_mul_i32 s2, s22, s11
	s_mul_hi_u32 s3, s22, s10
	s_add_i32 s2, s3, s2
	s_mul_i32 s3, s23, s10
	s_add_i32 s3, s2, s3
	s_mul_i32 s2, s22, s10
	s_lshl_b64 s[2:3], s[2:3], 3
	s_add_u32 s14, s14, s2
	s_addc_u32 s25, s15, s3
	s_lshl_b64 s[2:3], s[10:11], 3
	s_add_u32 s2, s14, s2
	s_mul_i32 s15, s18, s17
	s_mul_hi_u32 s17, s18, s16
	s_addc_u32 s3, s25, s3
	s_add_i32 s15, s17, s15
	s_mul_i32 s17, s19, s16
	s_add_i32 s17, s15, s17
	s_mul_i32 s16, s18, s16
	s_lshl_b64 s[16:17], s[16:17], 3
	s_add_u32 s15, s20, s16
	s_addc_u32 s16, s21, s17
	s_mul_i32 s9, s22, s9
	s_mul_hi_u32 s17, s22, s8
	s_add_i32 s9, s17, s9
	s_mul_i32 s17, s23, s8
	s_add_i32 s9, s9, s17
	s_mul_i32 s8, s22, s8
	s_sub_u32 s8, s12, s8
	s_subb_u32 s9, s13, s9
	s_mul_i32 s11, s8, s11
	s_mul_hi_u32 s12, s8, s10
	s_add_i32 s11, s12, s11
	s_mul_i32 s9, s9, s10
	s_add_i32 s9, s11, s9
	s_mul_i32 s8, s8, s10
	s_lshl_b64 s[8:9], s[8:9], 3
	v_lshlrev_b32_e32 v2, 3, v0
	s_add_u32 s15, s15, s8
	s_mov_b32 s26, 0
	v_mov_b32_e32 v3, s25
	v_add_co_u32_e32 v4, vcc, s14, v2
	s_addc_u32 s10, s16, s9
	v_addc_co_u32_e32 v5, vcc, 0, v3, vcc
	s_lshl_b32 s16, s24, 3
	s_mov_b64 s[8:9], 0
	v_pk_mov_b32 v[8:9], 0, 0
	v_mov_b32_e32 v3, s10
	v_mov_b32_e32 v12, s25
	s_lshl_b32 s17, s24, 3
	v_mov_b32_e32 v13, s26
	s_branch .LBB1_10
.LBB1_8:                                ;   in Loop: Header=BB1_10 Depth=1
	s_or_b64 exec, exec, s[12:13]
	v_pk_mov_b32 v[6:7], v[8:9], v[8:9] op_sel:[0,1]
.LBB1_9:                                ;   in Loop: Header=BB1_10 Depth=1
	s_or_b64 exec, exec, s[10:11]
	v_add_co_u32_e32 v4, vcc, s17, v4
	v_addc_co_u32_e32 v5, vcc, 0, v5, vcc
	v_add_co_u32_e32 v2, vcc, s16, v2
	v_addc_co_u32_e32 v1, vcc, v1, v13, vcc
	v_cmp_le_u64_e32 vcc, s[2:3], v[4:5]
	s_or_b64 s[8:9], vcc, s[8:9]
	v_pk_mov_b32 v[8:9], v[6:7], v[6:7] op_sel:[0,1]
	s_andn2_b64 exec, exec, s[8:9]
	s_cbranch_execz .LBB1_13
.LBB1_10:                               ; =>This Inner Loop Header: Depth=1
	v_add_co_u32_e32 v6, vcc, s15, v2
	v_addc_co_u32_e32 v7, vcc, v3, v1, vcc
	v_add_co_u32_e32 v10, vcc, s14, v2
	v_addc_co_u32_e32 v11, vcc, v12, v1, vcc
	global_load_dwordx2 v[14:15], v[10:11], off
	global_load_dwordx2 v[16:17], v[6:7], off
	s_waitcnt vmcnt(0)
	v_add_f64 v[10:11], v[14:15], -v[16:17]
	v_and_b32_e32 v7, 0x7fffffff, v11
	v_mov_b32_e32 v6, v10
	v_cmp_o_f64_e32 vcc, v[10:11], v[10:11]
	s_and_saveexec_b64 s[10:11], vcc
	s_cbranch_execz .LBB1_9
; %bb.11:                               ;   in Loop: Header=BB1_10 Depth=1
	v_cmp_neq_f64_e32 vcc, 0, v[10:11]
	s_and_saveexec_b64 s[12:13], vcc
	s_cbranch_execz .LBB1_8
; %bb.12:                               ;   in Loop: Header=BB1_10 Depth=1
	v_add_f64 v[8:9], v[8:9], 1.0
	s_branch .LBB1_8
.LBB1_13:
	s_or_b64 exec, exec, s[8:9]
.LBB1_14:
	s_or_b64 exec, exec, s[4:5]
	v_mbcnt_lo_u32_b32 v1, -1, 0
	v_mbcnt_hi_u32_b32 v10, -1, v1
	v_and_b32_e32 v12, 63, v10
	v_cmp_gt_u32_e32 vcc, 32, v12
	v_cndmask_b32_e64 v1, 0, 1, vcc
	v_lshlrev_b32_e32 v1, 5, v1
	v_add_lshl_u32 v1, v1, v10, 2
	ds_bpermute_b32 v2, v1, v6
	ds_bpermute_b32 v3, v1, v7
	v_cmp_gt_u32_e32 vcc, 48, v12
	v_cndmask_b32_e64 v4, 0, 1, vcc
	v_lshlrev_b32_e32 v4, 4, v4
	v_cmp_gt_u32_e32 vcc, 56, v12
	s_waitcnt lgkmcnt(0)
	v_add_f64 v[2:3], v[6:7], v[2:3]
	v_add_lshl_u32 v6, v4, v10, 2
	ds_bpermute_b32 v4, v6, v2
	ds_bpermute_b32 v5, v6, v3
	v_and_b32_e32 v11, 63, v0
	s_waitcnt lgkmcnt(0)
	s_barrier
	v_add_f64 v[2:3], v[2:3], v[4:5]
	v_cndmask_b32_e64 v4, 0, 1, vcc
	v_lshlrev_b32_e32 v4, 3, v4
	v_add_lshl_u32 v7, v4, v10, 2
	ds_bpermute_b32 v4, v7, v2
	ds_bpermute_b32 v5, v7, v3
	v_cmp_gt_u32_e32 vcc, 60, v12
	s_waitcnt lgkmcnt(0)
	v_add_f64 v[2:3], v[2:3], v[4:5]
	v_cndmask_b32_e64 v4, 0, 1, vcc
	v_lshlrev_b32_e32 v4, 2, v4
	v_add_lshl_u32 v8, v4, v10, 2
	ds_bpermute_b32 v4, v8, v2
	ds_bpermute_b32 v5, v8, v3
	v_cmp_gt_u32_e32 vcc, 62, v12
	s_waitcnt lgkmcnt(0)
	v_add_f64 v[2:3], v[2:3], v[4:5]
	v_cndmask_b32_e64 v4, 0, 1, vcc
	v_lshlrev_b32_e32 v4, 1, v4
	v_add_lshl_u32 v9, v4, v10, 2
	ds_bpermute_b32 v4, v9, v2
	ds_bpermute_b32 v5, v9, v3
	v_cmp_ne_u32_e32 vcc, 63, v12
	s_waitcnt lgkmcnt(0)
	v_add_f64 v[2:3], v[2:3], v[4:5]
	v_addc_co_u32_e32 v4, vcc, 0, v10, vcc
	v_lshlrev_b32_e32 v10, 2, v4
	ds_bpermute_b32 v4, v10, v2
	ds_bpermute_b32 v5, v10, v3
	v_cmp_eq_u32_e32 vcc, 0, v11
	s_and_saveexec_b64 s[2:3], vcc
	s_cbranch_execz .LBB1_16
; %bb.15:
	v_lshrrev_b32_e32 v12, 3, v0
	s_waitcnt lgkmcnt(0)
	v_add_f64 v[2:3], v[2:3], v[4:5]
	ds_write_b64 v12, v[2:3]
.LBB1_16:
	s_or_b64 exec, exec, s[2:3]
	s_lshr_b32 s2, s24, 6
	v_cmp_gt_u32_e32 vcc, s2, v0
	v_pk_mov_b32 v[2:3], 0, 0
	s_waitcnt lgkmcnt(0)
	s_barrier
	s_and_saveexec_b64 s[2:3], vcc
	s_cbranch_execnz .LBB1_20
; %bb.17:
	s_or_b64 exec, exec, s[2:3]
	v_cmp_gt_u32_e32 vcc, 64, v0
	s_and_saveexec_b64 s[2:3], vcc
	s_cbranch_execnz .LBB1_21
.LBB1_18:
	s_or_b64 exec, exec, s[2:3]
	v_cmp_eq_u32_e32 vcc, 0, v0
	s_and_saveexec_b64 s[2:3], vcc
	s_cbranch_execnz .LBB1_22
.LBB1_19:
	s_endpgm
.LBB1_20:
	v_lshlrev_b32_e32 v2, 3, v11
	ds_read_b64 v[2:3], v2
	s_or_b64 exec, exec, s[2:3]
	v_cmp_gt_u32_e32 vcc, 64, v0
	s_and_saveexec_b64 s[2:3], vcc
	s_cbranch_execz .LBB1_18
.LBB1_21:
	s_waitcnt lgkmcnt(0)
	ds_bpermute_b32 v4, v1, v2
	ds_bpermute_b32 v5, v1, v3
	s_waitcnt lgkmcnt(0)
	v_add_f64 v[2:3], v[2:3], v[4:5]
	ds_bpermute_b32 v4, v6, v2
	ds_bpermute_b32 v5, v6, v3
	s_waitcnt lgkmcnt(0)
	v_add_f64 v[2:3], v[2:3], v[4:5]
	;; [unrolled: 4-line block ×6, first 2 shown]
	s_or_b64 exec, exec, s[2:3]
	v_cmp_eq_u32_e32 vcc, 0, v0
	s_and_saveexec_b64 s[2:3], vcc
	s_cbranch_execz .LBB1_19
.LBB1_22:
	s_lshl_b64 s[2:3], s[6:7], 3
	s_add_u32 s0, s0, s2
	s_addc_u32 s1, s1, s3
	v_mov_b32_e32 v0, 0
	s_waitcnt lgkmcnt(0)
	global_store_dwordx2 v0, v[2:3], s[0:1]
	s_endpgm
.LBB1_23:
                                        ; implicit-def: $sgpr18_sgpr19
	s_branch .LBB1_2
.LBB1_24:
                                        ; implicit-def: $sgpr22_sgpr23
	s_branch .LBB1_5
	.section	.rodata,"a",@progbits
	.p2align	6, 0x0
	.amdhsa_kernel _ZN2at6native12_GLOBAL__N_122cdist_kernel_cuda_implIdNS1_5distsIdE4zeroEEEvPT_PKS6_S9_S6_lllll
		.amdhsa_group_segment_fixed_size 2048
		.amdhsa_private_segment_fixed_size 0
		.amdhsa_kernarg_size 328
		.amdhsa_user_sgpr_count 6
		.amdhsa_user_sgpr_private_segment_buffer 1
		.amdhsa_user_sgpr_dispatch_ptr 0
		.amdhsa_user_sgpr_queue_ptr 0
		.amdhsa_user_sgpr_kernarg_segment_ptr 1
		.amdhsa_user_sgpr_dispatch_id 0
		.amdhsa_user_sgpr_flat_scratch_init 0
		.amdhsa_user_sgpr_kernarg_preload_length 0
		.amdhsa_user_sgpr_kernarg_preload_offset 0
		.amdhsa_user_sgpr_private_segment_size 0
		.amdhsa_uses_dynamic_stack 0
		.amdhsa_system_sgpr_private_segment_wavefront_offset 0
		.amdhsa_system_sgpr_workgroup_id_x 1
		.amdhsa_system_sgpr_workgroup_id_y 0
		.amdhsa_system_sgpr_workgroup_id_z 0
		.amdhsa_system_sgpr_workgroup_info 0
		.amdhsa_system_vgpr_workitem_id 0
		.amdhsa_next_free_vgpr 18
		.amdhsa_next_free_sgpr 34
		.amdhsa_accum_offset 20
		.amdhsa_reserve_vcc 1
		.amdhsa_reserve_flat_scratch 0
		.amdhsa_float_round_mode_32 0
		.amdhsa_float_round_mode_16_64 0
		.amdhsa_float_denorm_mode_32 3
		.amdhsa_float_denorm_mode_16_64 3
		.amdhsa_dx10_clamp 1
		.amdhsa_ieee_mode 1
		.amdhsa_fp16_overflow 0
		.amdhsa_tg_split 0
		.amdhsa_exception_fp_ieee_invalid_op 0
		.amdhsa_exception_fp_denorm_src 0
		.amdhsa_exception_fp_ieee_div_zero 0
		.amdhsa_exception_fp_ieee_overflow 0
		.amdhsa_exception_fp_ieee_underflow 0
		.amdhsa_exception_fp_ieee_inexact 0
		.amdhsa_exception_int_div_zero 0
	.end_amdhsa_kernel
	.section	.text._ZN2at6native12_GLOBAL__N_122cdist_kernel_cuda_implIdNS1_5distsIdE4zeroEEEvPT_PKS6_S9_S6_lllll,"axG",@progbits,_ZN2at6native12_GLOBAL__N_122cdist_kernel_cuda_implIdNS1_5distsIdE4zeroEEEvPT_PKS6_S9_S6_lllll,comdat
.Lfunc_end1:
	.size	_ZN2at6native12_GLOBAL__N_122cdist_kernel_cuda_implIdNS1_5distsIdE4zeroEEEvPT_PKS6_S9_S6_lllll, .Lfunc_end1-_ZN2at6native12_GLOBAL__N_122cdist_kernel_cuda_implIdNS1_5distsIdE4zeroEEEvPT_PKS6_S9_S6_lllll
                                        ; -- End function
	.section	.AMDGPU.csdata,"",@progbits
; Kernel info:
; codeLenInByte = 2468
; NumSgprs: 38
; NumVgprs: 18
; NumAgprs: 0
; TotalNumVgprs: 18
; ScratchSize: 0
; MemoryBound: 0
; FloatMode: 240
; IeeeMode: 1
; LDSByteSize: 2048 bytes/workgroup (compile time only)
; SGPRBlocks: 4
; VGPRBlocks: 2
; NumSGPRsForWavesPerEU: 38
; NumVGPRsForWavesPerEU: 18
; AccumOffset: 20
; Occupancy: 8
; WaveLimiterHint : 0
; COMPUTE_PGM_RSRC2:SCRATCH_EN: 0
; COMPUTE_PGM_RSRC2:USER_SGPR: 6
; COMPUTE_PGM_RSRC2:TRAP_HANDLER: 0
; COMPUTE_PGM_RSRC2:TGID_X_EN: 1
; COMPUTE_PGM_RSRC2:TGID_Y_EN: 0
; COMPUTE_PGM_RSRC2:TGID_Z_EN: 0
; COMPUTE_PGM_RSRC2:TIDIG_COMP_CNT: 0
; COMPUTE_PGM_RSRC3_GFX90A:ACCUM_OFFSET: 4
; COMPUTE_PGM_RSRC3_GFX90A:TG_SPLIT: 0
	.section	.text._ZN2at6native12_GLOBAL__N_122cdist_kernel_cuda_implIdNS1_5distsIdE3oneEEEvPT_PKS6_S9_S6_lllll,"axG",@progbits,_ZN2at6native12_GLOBAL__N_122cdist_kernel_cuda_implIdNS1_5distsIdE3oneEEEvPT_PKS6_S9_S6_lllll,comdat
	.globl	_ZN2at6native12_GLOBAL__N_122cdist_kernel_cuda_implIdNS1_5distsIdE3oneEEEvPT_PKS6_S9_S6_lllll ; -- Begin function _ZN2at6native12_GLOBAL__N_122cdist_kernel_cuda_implIdNS1_5distsIdE3oneEEEvPT_PKS6_S9_S6_lllll
	.p2align	8
	.type	_ZN2at6native12_GLOBAL__N_122cdist_kernel_cuda_implIdNS1_5distsIdE3oneEEEvPT_PKS6_S9_S6_lllll,@function
_ZN2at6native12_GLOBAL__N_122cdist_kernel_cuda_implIdNS1_5distsIdE3oneEEEvPT_PKS6_S9_S6_lllll: ; @_ZN2at6native12_GLOBAL__N_122cdist_kernel_cuda_implIdNS1_5distsIdE3oneEEEvPT_PKS6_S9_S6_lllll
; %bb.0:
	s_load_dwordx8 s[8:15], s[4:5], 0x20
	s_load_dwordx2 s[16:17], s[4:5], 0x40
	s_mov_b32 s7, 0
	s_mov_b32 s0, s7
	s_waitcnt lgkmcnt(0)
	s_mov_b32 s1, s13
	s_cmp_lg_u64 s[0:1], 0
	s_cbranch_scc0 .LBB2_19
; %bb.1:
	s_ashr_i32 s2, s13, 31
	s_add_u32 s0, s12, s2
	s_mov_b32 s3, s2
	s_addc_u32 s1, s13, s2
	s_xor_b64 s[18:19], s[0:1], s[2:3]
	v_cvt_f32_u32_e32 v1, s18
	v_cvt_f32_u32_e32 v2, s19
	s_sub_u32 s0, 0, s18
	s_subb_u32 s1, 0, s19
	v_madmk_f32 v1, v2, 0x4f800000, v1
	v_rcp_f32_e32 v1, v1
	v_mul_f32_e32 v1, 0x5f7ffffc, v1
	v_mul_f32_e32 v2, 0x2f800000, v1
	v_trunc_f32_e32 v2, v2
	v_madmk_f32 v1, v2, 0xcf800000, v1
	v_cvt_u32_f32_e32 v2, v2
	v_cvt_u32_f32_e32 v1, v1
	v_readfirstlane_b32 s22, v2
	v_readfirstlane_b32 s23, v1
	s_mul_i32 s24, s0, s22
	s_mul_hi_u32 s26, s0, s23
	s_mul_i32 s25, s1, s23
	s_add_i32 s24, s26, s24
	s_add_i32 s24, s24, s25
	s_mul_i32 s27, s0, s23
	s_mul_hi_u32 s25, s23, s24
	s_mul_i32 s26, s23, s24
	s_mul_hi_u32 s23, s23, s27
	s_add_u32 s23, s23, s26
	s_addc_u32 s25, 0, s25
	s_mul_hi_u32 s28, s22, s27
	s_mul_i32 s27, s22, s27
	s_add_u32 s23, s23, s27
	s_mul_hi_u32 s26, s22, s24
	s_addc_u32 s23, s25, s28
	s_addc_u32 s25, s26, 0
	s_mul_i32 s24, s22, s24
	s_add_u32 s23, s23, s24
	s_addc_u32 s24, 0, s25
	v_add_co_u32_e32 v1, vcc, s23, v1
	s_cmp_lg_u64 vcc, 0
	s_addc_u32 s22, s22, s24
	v_readfirstlane_b32 s24, v1
	s_mul_i32 s23, s0, s22
	s_mul_hi_u32 s25, s0, s24
	s_add_i32 s23, s25, s23
	s_mul_i32 s1, s1, s24
	s_add_i32 s23, s23, s1
	s_mul_i32 s0, s0, s24
	s_mul_hi_u32 s25, s22, s0
	s_mul_i32 s26, s22, s0
	s_mul_i32 s28, s24, s23
	s_mul_hi_u32 s0, s24, s0
	s_mul_hi_u32 s27, s24, s23
	s_add_u32 s0, s0, s28
	s_addc_u32 s24, 0, s27
	s_add_u32 s0, s0, s26
	s_mul_hi_u32 s1, s22, s23
	s_addc_u32 s0, s24, s25
	s_addc_u32 s1, s1, 0
	s_mul_i32 s23, s22, s23
	s_add_u32 s0, s0, s23
	s_addc_u32 s1, 0, s1
	v_add_co_u32_e32 v1, vcc, s0, v1
	s_cmp_lg_u64 vcc, 0
	s_addc_u32 s0, s22, s1
	v_readfirstlane_b32 s22, v1
	s_mul_hi_u32 s1, s6, s0
	s_mul_i32 s0, s6, s0
	s_mul_hi_u32 s22, s6, s22
	s_add_u32 s0, s22, s0
	s_addc_u32 s1, 0, s1
	s_add_u32 s0, s0, 0
	s_addc_u32 s0, s1, 0
	s_addc_u32 s1, 0, 0
	s_add_u32 s22, s0, 0
	s_addc_u32 s23, 0, s1
	s_mul_i32 s0, s18, s23
	s_mul_hi_u32 s1, s18, s22
	s_add_i32 s0, s1, s0
	s_mul_i32 s1, s19, s22
	s_add_i32 s24, s0, s1
	s_mul_i32 s1, s18, s22
	v_mov_b32_e32 v1, s1
	s_sub_i32 s0, 0, s24
	v_sub_co_u32_e32 v1, vcc, s6, v1
	s_cmp_lg_u64 vcc, 0
	s_subb_u32 s25, s0, s19
	v_subrev_co_u32_e64 v2, s[0:1], s18, v1
	s_cmp_lg_u64 s[0:1], 0
	s_subb_u32 s0, s25, 0
	s_cmp_ge_u32 s0, s19
	v_readfirstlane_b32 s25, v2
	s_cselect_b32 s1, -1, 0
	s_cmp_ge_u32 s25, s18
	s_cselect_b32 s25, -1, 0
	s_cmp_eq_u32 s0, s19
	s_cselect_b32 s0, s25, s1
	s_add_u32 s1, s22, 1
	s_addc_u32 s25, s23, 0
	s_add_u32 s26, s22, 2
	s_addc_u32 s27, s23, 0
	s_cmp_lg_u32 s0, 0
	s_cselect_b32 s0, s26, s1
	s_cselect_b32 s1, s27, s25
	s_cmp_lg_u64 vcc, 0
	s_subb_u32 s24, 0, s24
	s_cmp_ge_u32 s24, s19
	v_readfirstlane_b32 s26, v1
	s_cselect_b32 s25, -1, 0
	s_cmp_ge_u32 s26, s18
	s_cselect_b32 s18, -1, 0
	s_cmp_eq_u32 s24, s19
	s_cselect_b32 s18, s18, s25
	s_cmp_lg_u32 s18, 0
	s_cselect_b32 s1, s1, s23
	s_cselect_b32 s0, s0, s22
	s_xor_b64 s[0:1], s[0:1], s[2:3]
	s_sub_u32 s18, s0, s2
	s_subb_u32 s19, s1, s2
	s_cbranch_execnz .LBB2_3
.LBB2_2:
	v_cvt_f32_u32_e32 v1, s12
	s_sub_i32 s0, 0, s12
	s_mov_b32 s19, 0
	v_rcp_iflag_f32_e32 v1, v1
	v_mul_f32_e32 v1, 0x4f7ffffe, v1
	v_cvt_u32_f32_e32 v1, v1
	v_readfirstlane_b32 s1, v1
	s_mul_i32 s0, s0, s1
	s_mul_hi_u32 s0, s1, s0
	s_add_i32 s1, s1, s0
	s_mul_hi_u32 s0, s6, s1
	s_mul_i32 s2, s0, s12
	s_sub_i32 s2, s6, s2
	s_add_i32 s1, s0, 1
	s_sub_i32 s3, s2, s12
	s_cmp_ge_u32 s2, s12
	s_cselect_b32 s0, s1, s0
	s_cselect_b32 s2, s3, s2
	s_add_i32 s1, s0, 1
	s_cmp_ge_u32 s2, s12
	s_cselect_b32 s18, s1, s0
.LBB2_3:
	s_mul_i32 s0, s18, s13
	s_mul_hi_u32 s1, s18, s12
	s_add_i32 s0, s1, s0
	s_mul_i32 s1, s19, s12
	s_add_i32 s0, s0, s1
	s_mul_i32 s1, s18, s12
	s_sub_u32 s12, s6, s1
	s_subb_u32 s13, 0, s0
	s_or_b64 s[0:1], s[12:13], s[8:9]
	s_mov_b32 s0, 0
	s_cmp_lg_u64 s[0:1], 0
	s_cbranch_scc0 .LBB2_20
; %bb.4:
	s_ashr_i32 s2, s9, 31
	s_add_u32 s0, s8, s2
	s_mov_b32 s3, s2
	s_addc_u32 s1, s9, s2
	s_xor_b64 s[22:23], s[0:1], s[2:3]
	v_cvt_f32_u32_e32 v1, s22
	v_cvt_f32_u32_e32 v2, s23
	s_sub_u32 s0, 0, s22
	s_subb_u32 s1, 0, s23
	v_madmk_f32 v1, v2, 0x4f800000, v1
	v_rcp_f32_e32 v1, v1
	v_mul_f32_e32 v1, 0x5f7ffffc, v1
	v_mul_f32_e32 v2, 0x2f800000, v1
	v_trunc_f32_e32 v2, v2
	v_madmk_f32 v1, v2, 0xcf800000, v1
	v_cvt_u32_f32_e32 v2, v2
	v_cvt_u32_f32_e32 v1, v1
	v_readfirstlane_b32 s24, v2
	v_readfirstlane_b32 s25, v1
	s_mul_i32 s26, s0, s24
	s_mul_hi_u32 s28, s0, s25
	s_mul_i32 s27, s1, s25
	s_add_i32 s26, s28, s26
	s_add_i32 s26, s26, s27
	s_mul_i32 s29, s0, s25
	s_mul_hi_u32 s27, s25, s26
	s_mul_i32 s28, s25, s26
	s_mul_hi_u32 s25, s25, s29
	s_add_u32 s25, s25, s28
	s_addc_u32 s27, 0, s27
	s_mul_hi_u32 s30, s24, s29
	s_mul_i32 s29, s24, s29
	s_add_u32 s25, s25, s29
	s_mul_hi_u32 s28, s24, s26
	s_addc_u32 s25, s27, s30
	s_addc_u32 s27, s28, 0
	s_mul_i32 s26, s24, s26
	s_add_u32 s25, s25, s26
	s_addc_u32 s26, 0, s27
	v_add_co_u32_e32 v1, vcc, s25, v1
	s_cmp_lg_u64 vcc, 0
	s_addc_u32 s24, s24, s26
	v_readfirstlane_b32 s26, v1
	s_mul_i32 s25, s0, s24
	s_mul_hi_u32 s27, s0, s26
	s_add_i32 s25, s27, s25
	s_mul_i32 s1, s1, s26
	s_add_i32 s25, s25, s1
	s_mul_i32 s0, s0, s26
	s_mul_hi_u32 s27, s24, s0
	s_mul_i32 s28, s24, s0
	s_mul_i32 s30, s26, s25
	s_mul_hi_u32 s0, s26, s0
	s_mul_hi_u32 s29, s26, s25
	s_add_u32 s0, s0, s30
	s_addc_u32 s26, 0, s29
	s_add_u32 s0, s0, s28
	s_mul_hi_u32 s1, s24, s25
	s_addc_u32 s0, s26, s27
	s_addc_u32 s1, s1, 0
	s_mul_i32 s25, s24, s25
	s_add_u32 s0, s0, s25
	s_addc_u32 s1, 0, s1
	v_add_co_u32_e32 v1, vcc, s0, v1
	s_cmp_lg_u64 vcc, 0
	s_addc_u32 s28, s24, s1
	s_ashr_i32 s24, s13, 31
	s_add_u32 s0, s12, s24
	s_mov_b32 s25, s24
	s_addc_u32 s1, s13, s24
	s_xor_b64 s[26:27], s[0:1], s[24:25]
	v_readfirstlane_b32 s29, v1
	s_mul_i32 s1, s26, s28
	s_mul_hi_u32 s30, s26, s29
	s_mul_hi_u32 s0, s26, s28
	s_add_u32 s1, s30, s1
	s_addc_u32 s0, 0, s0
	s_mul_hi_u32 s31, s27, s29
	s_mul_i32 s29, s27, s29
	s_add_u32 s1, s1, s29
	s_mul_hi_u32 s30, s27, s28
	s_addc_u32 s0, s0, s31
	s_addc_u32 s1, s30, 0
	s_mul_i32 s28, s27, s28
	s_add_u32 s28, s0, s28
	s_addc_u32 s29, 0, s1
	s_mul_i32 s0, s22, s29
	s_mul_hi_u32 s1, s22, s28
	s_add_i32 s0, s1, s0
	s_mul_i32 s1, s23, s28
	s_add_i32 s30, s0, s1
	s_mul_i32 s1, s22, s28
	v_mov_b32_e32 v1, s1
	s_sub_i32 s0, s27, s30
	v_sub_co_u32_e32 v1, vcc, s26, v1
	s_cmp_lg_u64 vcc, 0
	s_subb_u32 s26, s0, s23
	v_subrev_co_u32_e64 v2, s[0:1], s22, v1
	s_cmp_lg_u64 s[0:1], 0
	s_subb_u32 s0, s26, 0
	s_cmp_ge_u32 s0, s23
	v_readfirstlane_b32 s26, v2
	s_cselect_b32 s1, -1, 0
	s_cmp_ge_u32 s26, s22
	s_cselect_b32 s26, -1, 0
	s_cmp_eq_u32 s0, s23
	s_cselect_b32 s0, s26, s1
	s_add_u32 s1, s28, 1
	s_addc_u32 s26, s29, 0
	s_add_u32 s31, s28, 2
	s_addc_u32 s33, s29, 0
	s_cmp_lg_u32 s0, 0
	s_cselect_b32 s0, s31, s1
	s_cselect_b32 s1, s33, s26
	s_cmp_lg_u64 vcc, 0
	s_subb_u32 s26, s27, s30
	s_cmp_ge_u32 s26, s23
	v_readfirstlane_b32 s30, v1
	s_cselect_b32 s27, -1, 0
	s_cmp_ge_u32 s30, s22
	s_cselect_b32 s22, -1, 0
	s_cmp_eq_u32 s26, s23
	s_cselect_b32 s22, s22, s27
	s_cmp_lg_u32 s22, 0
	s_cselect_b32 s1, s1, s29
	s_cselect_b32 s0, s0, s28
	s_xor_b64 s[2:3], s[24:25], s[2:3]
	s_xor_b64 s[0:1], s[0:1], s[2:3]
	s_sub_u32 s22, s0, s2
	s_subb_u32 s23, s1, s3
	s_cbranch_execnz .LBB2_6
.LBB2_5:
	v_cvt_f32_u32_e32 v1, s8
	s_sub_i32 s0, 0, s8
	s_mov_b32 s23, 0
	v_rcp_iflag_f32_e32 v1, v1
	v_mul_f32_e32 v1, 0x4f7ffffe, v1
	v_cvt_u32_f32_e32 v1, v1
	v_readfirstlane_b32 s1, v1
	s_mul_i32 s0, s0, s1
	s_mul_hi_u32 s0, s1, s0
	s_add_i32 s1, s1, s0
	s_mul_hi_u32 s0, s12, s1
	s_mul_i32 s2, s0, s8
	s_sub_i32 s2, s12, s2
	s_add_i32 s1, s0, 1
	s_sub_i32 s3, s2, s8
	s_cmp_ge_u32 s2, s8
	s_cselect_b32 s0, s1, s0
	s_cselect_b32 s2, s3, s2
	s_add_i32 s1, s0, 1
	s_cmp_ge_u32 s2, s8
	s_cselect_b32 s22, s1, s0
.LBB2_6:
	s_load_dword s24, s[4:5], 0x54
	s_load_dwordx4 s[0:3], s[4:5], 0x0
	s_load_dwordx2 s[20:21], s[4:5], 0x10
	v_mov_b32_e32 v1, 0
	v_cmp_gt_i64_e32 vcc, s[10:11], v[0:1]
	s_waitcnt lgkmcnt(0)
	s_and_b32 s24, s24, 0xffff
	v_pk_mov_b32 v[6:7], 0, 0
	s_and_saveexec_b64 s[4:5], vcc
	s_cbranch_execz .LBB2_10
; %bb.7:
	s_mul_i32 s15, s18, s15
	s_mul_hi_u32 s25, s18, s14
	s_add_i32 s15, s25, s15
	s_mul_i32 s25, s19, s14
	s_add_i32 s15, s15, s25
	s_mul_i32 s14, s18, s14
	s_lshl_b64 s[14:15], s[14:15], 3
	s_add_u32 s14, s2, s14
	s_addc_u32 s15, s3, s15
	s_mul_i32 s2, s22, s11
	s_mul_hi_u32 s3, s22, s10
	s_add_i32 s2, s3, s2
	s_mul_i32 s3, s23, s10
	s_add_i32 s3, s2, s3
	s_mul_i32 s2, s22, s10
	s_lshl_b64 s[2:3], s[2:3], 3
	s_add_u32 s14, s14, s2
	s_addc_u32 s15, s15, s3
	s_lshl_b64 s[2:3], s[10:11], 3
	s_add_u32 s2, s14, s2
	s_mul_i32 s17, s18, s17
	s_mul_hi_u32 s26, s18, s16
	s_addc_u32 s3, s15, s3
	s_add_i32 s17, s26, s17
	s_mul_i32 s19, s19, s16
	s_add_i32 s17, s17, s19
	s_mul_i32 s16, s18, s16
	s_lshl_b64 s[16:17], s[16:17], 3
	s_add_u32 s16, s20, s16
	s_mul_i32 s9, s22, s9
	s_mul_hi_u32 s18, s22, s8
	s_addc_u32 s17, s21, s17
	s_add_i32 s9, s18, s9
	s_mul_i32 s18, s23, s8
	s_add_i32 s9, s9, s18
	s_mul_i32 s8, s22, s8
	s_sub_u32 s8, s12, s8
	s_subb_u32 s9, s13, s9
	s_mul_i32 s11, s8, s11
	s_mul_hi_u32 s12, s8, s10
	s_add_i32 s11, s12, s11
	s_mul_i32 s9, s9, s10
	s_add_i32 s9, s11, s9
	s_mul_i32 s8, s8, s10
	s_lshl_b64 s[8:9], s[8:9], 3
	v_lshlrev_b32_e32 v2, 3, v0
	s_add_u32 s10, s16, s8
	s_mov_b32 s25, 0
	v_mov_b32_e32 v3, s15
	v_add_co_u32_e32 v4, vcc, s14, v2
	s_addc_u32 s12, s17, s9
	v_addc_co_u32_e32 v5, vcc, 0, v3, vcc
	s_lshl_b32 s11, s24, 3
	s_mov_b64 s[8:9], 0
	v_pk_mov_b32 v[6:7], 0, 0
	v_mov_b32_e32 v3, s12
	v_mov_b32_e32 v8, s15
	s_lshl_b32 s12, s24, 3
	v_mov_b32_e32 v9, s25
.LBB2_8:                                ; =>This Inner Loop Header: Depth=1
	v_add_co_u32_e32 v10, vcc, s10, v2
	v_addc_co_u32_e32 v11, vcc, v3, v1, vcc
	v_add_co_u32_e32 v12, vcc, s14, v2
	v_addc_co_u32_e32 v13, vcc, v8, v1, vcc
	global_load_dwordx2 v[14:15], v[12:13], off
	global_load_dwordx2 v[16:17], v[10:11], off
	v_add_co_u32_e32 v4, vcc, s12, v4
	v_addc_co_u32_e32 v5, vcc, 0, v5, vcc
	v_add_co_u32_e32 v2, vcc, s11, v2
	v_addc_co_u32_e32 v1, vcc, v1, v9, vcc
	v_cmp_le_u64_e32 vcc, s[2:3], v[4:5]
	s_or_b64 s[8:9], vcc, s[8:9]
	s_waitcnt vmcnt(0)
	v_add_f64 v[10:11], v[14:15], -v[16:17]
	v_add_f64 v[6:7], v[6:7], |v[10:11]|
	s_andn2_b64 exec, exec, s[8:9]
	s_cbranch_execnz .LBB2_8
; %bb.9:
	s_or_b64 exec, exec, s[8:9]
.LBB2_10:
	s_or_b64 exec, exec, s[4:5]
	v_mbcnt_lo_u32_b32 v1, -1, 0
	v_mbcnt_hi_u32_b32 v10, -1, v1
	v_and_b32_e32 v12, 63, v10
	v_cmp_gt_u32_e32 vcc, 32, v12
	v_cndmask_b32_e64 v1, 0, 1, vcc
	v_lshlrev_b32_e32 v1, 5, v1
	v_add_lshl_u32 v1, v1, v10, 2
	ds_bpermute_b32 v2, v1, v6
	ds_bpermute_b32 v3, v1, v7
	v_cmp_gt_u32_e32 vcc, 48, v12
	v_cndmask_b32_e64 v4, 0, 1, vcc
	v_lshlrev_b32_e32 v4, 4, v4
	v_cmp_gt_u32_e32 vcc, 56, v12
	s_waitcnt lgkmcnt(0)
	v_add_f64 v[2:3], v[6:7], v[2:3]
	v_add_lshl_u32 v6, v4, v10, 2
	ds_bpermute_b32 v4, v6, v2
	ds_bpermute_b32 v5, v6, v3
	v_and_b32_e32 v11, 63, v0
	s_waitcnt lgkmcnt(0)
	s_barrier
	v_add_f64 v[2:3], v[2:3], v[4:5]
	v_cndmask_b32_e64 v4, 0, 1, vcc
	v_lshlrev_b32_e32 v4, 3, v4
	v_add_lshl_u32 v7, v4, v10, 2
	ds_bpermute_b32 v4, v7, v2
	ds_bpermute_b32 v5, v7, v3
	v_cmp_gt_u32_e32 vcc, 60, v12
	s_waitcnt lgkmcnt(0)
	v_add_f64 v[2:3], v[2:3], v[4:5]
	v_cndmask_b32_e64 v4, 0, 1, vcc
	v_lshlrev_b32_e32 v4, 2, v4
	v_add_lshl_u32 v8, v4, v10, 2
	ds_bpermute_b32 v4, v8, v2
	ds_bpermute_b32 v5, v8, v3
	v_cmp_gt_u32_e32 vcc, 62, v12
	s_waitcnt lgkmcnt(0)
	v_add_f64 v[2:3], v[2:3], v[4:5]
	v_cndmask_b32_e64 v4, 0, 1, vcc
	v_lshlrev_b32_e32 v4, 1, v4
	v_add_lshl_u32 v9, v4, v10, 2
	ds_bpermute_b32 v4, v9, v2
	ds_bpermute_b32 v5, v9, v3
	v_cmp_ne_u32_e32 vcc, 63, v12
	s_waitcnt lgkmcnt(0)
	v_add_f64 v[2:3], v[2:3], v[4:5]
	v_addc_co_u32_e32 v4, vcc, 0, v10, vcc
	v_lshlrev_b32_e32 v10, 2, v4
	ds_bpermute_b32 v4, v10, v2
	ds_bpermute_b32 v5, v10, v3
	v_cmp_eq_u32_e32 vcc, 0, v11
	s_and_saveexec_b64 s[2:3], vcc
	s_cbranch_execz .LBB2_12
; %bb.11:
	v_lshrrev_b32_e32 v12, 3, v0
	s_waitcnt lgkmcnt(0)
	v_add_f64 v[2:3], v[2:3], v[4:5]
	ds_write_b64 v12, v[2:3]
.LBB2_12:
	s_or_b64 exec, exec, s[2:3]
	s_lshr_b32 s2, s24, 6
	v_cmp_gt_u32_e32 vcc, s2, v0
	v_pk_mov_b32 v[2:3], 0, 0
	s_waitcnt lgkmcnt(0)
	s_barrier
	s_and_saveexec_b64 s[2:3], vcc
	s_cbranch_execnz .LBB2_16
; %bb.13:
	s_or_b64 exec, exec, s[2:3]
	v_cmp_gt_u32_e32 vcc, 64, v0
	s_and_saveexec_b64 s[2:3], vcc
	s_cbranch_execnz .LBB2_17
.LBB2_14:
	s_or_b64 exec, exec, s[2:3]
	v_cmp_eq_u32_e32 vcc, 0, v0
	s_and_saveexec_b64 s[2:3], vcc
	s_cbranch_execnz .LBB2_18
.LBB2_15:
	s_endpgm
.LBB2_16:
	v_lshlrev_b32_e32 v2, 3, v11
	ds_read_b64 v[2:3], v2
	s_or_b64 exec, exec, s[2:3]
	v_cmp_gt_u32_e32 vcc, 64, v0
	s_and_saveexec_b64 s[2:3], vcc
	s_cbranch_execz .LBB2_14
.LBB2_17:
	s_waitcnt lgkmcnt(0)
	ds_bpermute_b32 v4, v1, v2
	ds_bpermute_b32 v5, v1, v3
	s_waitcnt lgkmcnt(0)
	v_add_f64 v[2:3], v[2:3], v[4:5]
	ds_bpermute_b32 v4, v6, v2
	ds_bpermute_b32 v5, v6, v3
	s_waitcnt lgkmcnt(0)
	v_add_f64 v[2:3], v[2:3], v[4:5]
	;; [unrolled: 4-line block ×6, first 2 shown]
	s_or_b64 exec, exec, s[2:3]
	v_cmp_eq_u32_e32 vcc, 0, v0
	s_and_saveexec_b64 s[2:3], vcc
	s_cbranch_execz .LBB2_15
.LBB2_18:
	s_lshl_b64 s[2:3], s[6:7], 3
	s_add_u32 s0, s0, s2
	s_addc_u32 s1, s1, s3
	v_mov_b32_e32 v0, 0
	s_waitcnt lgkmcnt(0)
	global_store_dwordx2 v0, v[2:3], s[0:1]
	s_endpgm
.LBB2_19:
                                        ; implicit-def: $sgpr18_sgpr19
	s_branch .LBB2_2
.LBB2_20:
                                        ; implicit-def: $sgpr22_sgpr23
	s_branch .LBB2_5
	.section	.rodata,"a",@progbits
	.p2align	6, 0x0
	.amdhsa_kernel _ZN2at6native12_GLOBAL__N_122cdist_kernel_cuda_implIdNS1_5distsIdE3oneEEEvPT_PKS6_S9_S6_lllll
		.amdhsa_group_segment_fixed_size 2048
		.amdhsa_private_segment_fixed_size 0
		.amdhsa_kernarg_size 328
		.amdhsa_user_sgpr_count 6
		.amdhsa_user_sgpr_private_segment_buffer 1
		.amdhsa_user_sgpr_dispatch_ptr 0
		.amdhsa_user_sgpr_queue_ptr 0
		.amdhsa_user_sgpr_kernarg_segment_ptr 1
		.amdhsa_user_sgpr_dispatch_id 0
		.amdhsa_user_sgpr_flat_scratch_init 0
		.amdhsa_user_sgpr_kernarg_preload_length 0
		.amdhsa_user_sgpr_kernarg_preload_offset 0
		.amdhsa_user_sgpr_private_segment_size 0
		.amdhsa_uses_dynamic_stack 0
		.amdhsa_system_sgpr_private_segment_wavefront_offset 0
		.amdhsa_system_sgpr_workgroup_id_x 1
		.amdhsa_system_sgpr_workgroup_id_y 0
		.amdhsa_system_sgpr_workgroup_id_z 0
		.amdhsa_system_sgpr_workgroup_info 0
		.amdhsa_system_vgpr_workitem_id 0
		.amdhsa_next_free_vgpr 18
		.amdhsa_next_free_sgpr 34
		.amdhsa_accum_offset 20
		.amdhsa_reserve_vcc 1
		.amdhsa_reserve_flat_scratch 0
		.amdhsa_float_round_mode_32 0
		.amdhsa_float_round_mode_16_64 0
		.amdhsa_float_denorm_mode_32 3
		.amdhsa_float_denorm_mode_16_64 3
		.amdhsa_dx10_clamp 1
		.amdhsa_ieee_mode 1
		.amdhsa_fp16_overflow 0
		.amdhsa_tg_split 0
		.amdhsa_exception_fp_ieee_invalid_op 0
		.amdhsa_exception_fp_denorm_src 0
		.amdhsa_exception_fp_ieee_div_zero 0
		.amdhsa_exception_fp_ieee_overflow 0
		.amdhsa_exception_fp_ieee_underflow 0
		.amdhsa_exception_fp_ieee_inexact 0
		.amdhsa_exception_int_div_zero 0
	.end_amdhsa_kernel
	.section	.text._ZN2at6native12_GLOBAL__N_122cdist_kernel_cuda_implIdNS1_5distsIdE3oneEEEvPT_PKS6_S9_S6_lllll,"axG",@progbits,_ZN2at6native12_GLOBAL__N_122cdist_kernel_cuda_implIdNS1_5distsIdE3oneEEEvPT_PKS6_S9_S6_lllll,comdat
.Lfunc_end2:
	.size	_ZN2at6native12_GLOBAL__N_122cdist_kernel_cuda_implIdNS1_5distsIdE3oneEEEvPT_PKS6_S9_S6_lllll, .Lfunc_end2-_ZN2at6native12_GLOBAL__N_122cdist_kernel_cuda_implIdNS1_5distsIdE3oneEEEvPT_PKS6_S9_S6_lllll
                                        ; -- End function
	.section	.AMDGPU.csdata,"",@progbits
; Kernel info:
; codeLenInByte = 2400
; NumSgprs: 38
; NumVgprs: 18
; NumAgprs: 0
; TotalNumVgprs: 18
; ScratchSize: 0
; MemoryBound: 0
; FloatMode: 240
; IeeeMode: 1
; LDSByteSize: 2048 bytes/workgroup (compile time only)
; SGPRBlocks: 4
; VGPRBlocks: 2
; NumSGPRsForWavesPerEU: 38
; NumVGPRsForWavesPerEU: 18
; AccumOffset: 20
; Occupancy: 8
; WaveLimiterHint : 0
; COMPUTE_PGM_RSRC2:SCRATCH_EN: 0
; COMPUTE_PGM_RSRC2:USER_SGPR: 6
; COMPUTE_PGM_RSRC2:TRAP_HANDLER: 0
; COMPUTE_PGM_RSRC2:TGID_X_EN: 1
; COMPUTE_PGM_RSRC2:TGID_Y_EN: 0
; COMPUTE_PGM_RSRC2:TGID_Z_EN: 0
; COMPUTE_PGM_RSRC2:TIDIG_COMP_CNT: 0
; COMPUTE_PGM_RSRC3_GFX90A:ACCUM_OFFSET: 4
; COMPUTE_PGM_RSRC3_GFX90A:TG_SPLIT: 0
	.section	.text._ZN2at6native12_GLOBAL__N_122cdist_kernel_cuda_implIdNS1_5distsIdE3twoEEEvPT_PKS6_S9_S6_lllll,"axG",@progbits,_ZN2at6native12_GLOBAL__N_122cdist_kernel_cuda_implIdNS1_5distsIdE3twoEEEvPT_PKS6_S9_S6_lllll,comdat
	.globl	_ZN2at6native12_GLOBAL__N_122cdist_kernel_cuda_implIdNS1_5distsIdE3twoEEEvPT_PKS6_S9_S6_lllll ; -- Begin function _ZN2at6native12_GLOBAL__N_122cdist_kernel_cuda_implIdNS1_5distsIdE3twoEEEvPT_PKS6_S9_S6_lllll
	.p2align	8
	.type	_ZN2at6native12_GLOBAL__N_122cdist_kernel_cuda_implIdNS1_5distsIdE3twoEEEvPT_PKS6_S9_S6_lllll,@function
_ZN2at6native12_GLOBAL__N_122cdist_kernel_cuda_implIdNS1_5distsIdE3twoEEEvPT_PKS6_S9_S6_lllll: ; @_ZN2at6native12_GLOBAL__N_122cdist_kernel_cuda_implIdNS1_5distsIdE3twoEEEvPT_PKS6_S9_S6_lllll
; %bb.0:
	s_load_dwordx8 s[8:15], s[4:5], 0x20
	s_load_dwordx2 s[16:17], s[4:5], 0x40
	s_mov_b32 s7, 0
	s_mov_b32 s0, s7
	s_waitcnt lgkmcnt(0)
	s_mov_b32 s1, s13
	s_cmp_lg_u64 s[0:1], 0
	s_cbranch_scc0 .LBB3_19
; %bb.1:
	s_ashr_i32 s2, s13, 31
	s_add_u32 s0, s12, s2
	s_mov_b32 s3, s2
	s_addc_u32 s1, s13, s2
	s_xor_b64 s[18:19], s[0:1], s[2:3]
	v_cvt_f32_u32_e32 v1, s18
	v_cvt_f32_u32_e32 v2, s19
	s_sub_u32 s0, 0, s18
	s_subb_u32 s1, 0, s19
	v_madmk_f32 v1, v2, 0x4f800000, v1
	v_rcp_f32_e32 v1, v1
	v_mul_f32_e32 v1, 0x5f7ffffc, v1
	v_mul_f32_e32 v2, 0x2f800000, v1
	v_trunc_f32_e32 v2, v2
	v_madmk_f32 v1, v2, 0xcf800000, v1
	v_cvt_u32_f32_e32 v2, v2
	v_cvt_u32_f32_e32 v1, v1
	v_readfirstlane_b32 s22, v2
	v_readfirstlane_b32 s23, v1
	s_mul_i32 s24, s0, s22
	s_mul_hi_u32 s26, s0, s23
	s_mul_i32 s25, s1, s23
	s_add_i32 s24, s26, s24
	s_add_i32 s24, s24, s25
	s_mul_i32 s27, s0, s23
	s_mul_hi_u32 s25, s23, s24
	s_mul_i32 s26, s23, s24
	s_mul_hi_u32 s23, s23, s27
	s_add_u32 s23, s23, s26
	s_addc_u32 s25, 0, s25
	s_mul_hi_u32 s28, s22, s27
	s_mul_i32 s27, s22, s27
	s_add_u32 s23, s23, s27
	s_mul_hi_u32 s26, s22, s24
	s_addc_u32 s23, s25, s28
	s_addc_u32 s25, s26, 0
	s_mul_i32 s24, s22, s24
	s_add_u32 s23, s23, s24
	s_addc_u32 s24, 0, s25
	v_add_co_u32_e32 v1, vcc, s23, v1
	s_cmp_lg_u64 vcc, 0
	s_addc_u32 s22, s22, s24
	v_readfirstlane_b32 s24, v1
	s_mul_i32 s23, s0, s22
	s_mul_hi_u32 s25, s0, s24
	s_add_i32 s23, s25, s23
	s_mul_i32 s1, s1, s24
	s_add_i32 s23, s23, s1
	s_mul_i32 s0, s0, s24
	s_mul_hi_u32 s25, s22, s0
	s_mul_i32 s26, s22, s0
	s_mul_i32 s28, s24, s23
	s_mul_hi_u32 s0, s24, s0
	s_mul_hi_u32 s27, s24, s23
	s_add_u32 s0, s0, s28
	s_addc_u32 s24, 0, s27
	s_add_u32 s0, s0, s26
	s_mul_hi_u32 s1, s22, s23
	s_addc_u32 s0, s24, s25
	s_addc_u32 s1, s1, 0
	s_mul_i32 s23, s22, s23
	s_add_u32 s0, s0, s23
	s_addc_u32 s1, 0, s1
	v_add_co_u32_e32 v1, vcc, s0, v1
	s_cmp_lg_u64 vcc, 0
	s_addc_u32 s0, s22, s1
	v_readfirstlane_b32 s22, v1
	s_mul_hi_u32 s1, s6, s0
	s_mul_i32 s0, s6, s0
	s_mul_hi_u32 s22, s6, s22
	s_add_u32 s0, s22, s0
	s_addc_u32 s1, 0, s1
	s_add_u32 s0, s0, 0
	s_addc_u32 s0, s1, 0
	s_addc_u32 s1, 0, 0
	s_add_u32 s22, s0, 0
	s_addc_u32 s23, 0, s1
	s_mul_i32 s0, s18, s23
	s_mul_hi_u32 s1, s18, s22
	s_add_i32 s0, s1, s0
	s_mul_i32 s1, s19, s22
	s_add_i32 s24, s0, s1
	s_mul_i32 s1, s18, s22
	v_mov_b32_e32 v1, s1
	s_sub_i32 s0, 0, s24
	v_sub_co_u32_e32 v1, vcc, s6, v1
	s_cmp_lg_u64 vcc, 0
	s_subb_u32 s25, s0, s19
	v_subrev_co_u32_e64 v2, s[0:1], s18, v1
	s_cmp_lg_u64 s[0:1], 0
	s_subb_u32 s0, s25, 0
	s_cmp_ge_u32 s0, s19
	v_readfirstlane_b32 s25, v2
	s_cselect_b32 s1, -1, 0
	s_cmp_ge_u32 s25, s18
	s_cselect_b32 s25, -1, 0
	s_cmp_eq_u32 s0, s19
	s_cselect_b32 s0, s25, s1
	s_add_u32 s1, s22, 1
	s_addc_u32 s25, s23, 0
	s_add_u32 s26, s22, 2
	s_addc_u32 s27, s23, 0
	s_cmp_lg_u32 s0, 0
	s_cselect_b32 s0, s26, s1
	s_cselect_b32 s1, s27, s25
	s_cmp_lg_u64 vcc, 0
	s_subb_u32 s24, 0, s24
	s_cmp_ge_u32 s24, s19
	v_readfirstlane_b32 s26, v1
	s_cselect_b32 s25, -1, 0
	s_cmp_ge_u32 s26, s18
	s_cselect_b32 s18, -1, 0
	s_cmp_eq_u32 s24, s19
	s_cselect_b32 s18, s18, s25
	s_cmp_lg_u32 s18, 0
	s_cselect_b32 s1, s1, s23
	s_cselect_b32 s0, s0, s22
	s_xor_b64 s[0:1], s[0:1], s[2:3]
	s_sub_u32 s18, s0, s2
	s_subb_u32 s19, s1, s2
	s_cbranch_execnz .LBB3_3
.LBB3_2:
	v_cvt_f32_u32_e32 v1, s12
	s_sub_i32 s0, 0, s12
	s_mov_b32 s19, 0
	v_rcp_iflag_f32_e32 v1, v1
	v_mul_f32_e32 v1, 0x4f7ffffe, v1
	v_cvt_u32_f32_e32 v1, v1
	v_readfirstlane_b32 s1, v1
	s_mul_i32 s0, s0, s1
	s_mul_hi_u32 s0, s1, s0
	s_add_i32 s1, s1, s0
	s_mul_hi_u32 s0, s6, s1
	s_mul_i32 s2, s0, s12
	s_sub_i32 s2, s6, s2
	s_add_i32 s1, s0, 1
	s_sub_i32 s3, s2, s12
	s_cmp_ge_u32 s2, s12
	s_cselect_b32 s0, s1, s0
	s_cselect_b32 s2, s3, s2
	s_add_i32 s1, s0, 1
	s_cmp_ge_u32 s2, s12
	s_cselect_b32 s18, s1, s0
.LBB3_3:
	s_mul_i32 s0, s18, s13
	s_mul_hi_u32 s1, s18, s12
	s_add_i32 s0, s1, s0
	s_mul_i32 s1, s19, s12
	s_add_i32 s0, s0, s1
	s_mul_i32 s1, s18, s12
	s_sub_u32 s12, s6, s1
	s_subb_u32 s13, 0, s0
	s_or_b64 s[0:1], s[12:13], s[8:9]
	s_mov_b32 s0, 0
	s_cmp_lg_u64 s[0:1], 0
	s_cbranch_scc0 .LBB3_20
; %bb.4:
	s_ashr_i32 s2, s9, 31
	s_add_u32 s0, s8, s2
	s_mov_b32 s3, s2
	s_addc_u32 s1, s9, s2
	s_xor_b64 s[22:23], s[0:1], s[2:3]
	v_cvt_f32_u32_e32 v1, s22
	v_cvt_f32_u32_e32 v2, s23
	s_sub_u32 s0, 0, s22
	s_subb_u32 s1, 0, s23
	v_madmk_f32 v1, v2, 0x4f800000, v1
	v_rcp_f32_e32 v1, v1
	v_mul_f32_e32 v1, 0x5f7ffffc, v1
	v_mul_f32_e32 v2, 0x2f800000, v1
	v_trunc_f32_e32 v2, v2
	v_madmk_f32 v1, v2, 0xcf800000, v1
	v_cvt_u32_f32_e32 v2, v2
	v_cvt_u32_f32_e32 v1, v1
	v_readfirstlane_b32 s24, v2
	v_readfirstlane_b32 s25, v1
	s_mul_i32 s26, s0, s24
	s_mul_hi_u32 s28, s0, s25
	s_mul_i32 s27, s1, s25
	s_add_i32 s26, s28, s26
	s_add_i32 s26, s26, s27
	s_mul_i32 s29, s0, s25
	s_mul_hi_u32 s27, s25, s26
	s_mul_i32 s28, s25, s26
	s_mul_hi_u32 s25, s25, s29
	s_add_u32 s25, s25, s28
	s_addc_u32 s27, 0, s27
	s_mul_hi_u32 s30, s24, s29
	s_mul_i32 s29, s24, s29
	s_add_u32 s25, s25, s29
	s_mul_hi_u32 s28, s24, s26
	s_addc_u32 s25, s27, s30
	s_addc_u32 s27, s28, 0
	s_mul_i32 s26, s24, s26
	s_add_u32 s25, s25, s26
	s_addc_u32 s26, 0, s27
	v_add_co_u32_e32 v1, vcc, s25, v1
	s_cmp_lg_u64 vcc, 0
	s_addc_u32 s24, s24, s26
	v_readfirstlane_b32 s26, v1
	s_mul_i32 s25, s0, s24
	s_mul_hi_u32 s27, s0, s26
	s_add_i32 s25, s27, s25
	s_mul_i32 s1, s1, s26
	s_add_i32 s25, s25, s1
	s_mul_i32 s0, s0, s26
	s_mul_hi_u32 s27, s24, s0
	s_mul_i32 s28, s24, s0
	s_mul_i32 s30, s26, s25
	s_mul_hi_u32 s0, s26, s0
	s_mul_hi_u32 s29, s26, s25
	s_add_u32 s0, s0, s30
	s_addc_u32 s26, 0, s29
	s_add_u32 s0, s0, s28
	s_mul_hi_u32 s1, s24, s25
	s_addc_u32 s0, s26, s27
	s_addc_u32 s1, s1, 0
	s_mul_i32 s25, s24, s25
	s_add_u32 s0, s0, s25
	s_addc_u32 s1, 0, s1
	v_add_co_u32_e32 v1, vcc, s0, v1
	s_cmp_lg_u64 vcc, 0
	s_addc_u32 s28, s24, s1
	s_ashr_i32 s24, s13, 31
	s_add_u32 s0, s12, s24
	s_mov_b32 s25, s24
	s_addc_u32 s1, s13, s24
	s_xor_b64 s[26:27], s[0:1], s[24:25]
	v_readfirstlane_b32 s29, v1
	s_mul_i32 s1, s26, s28
	s_mul_hi_u32 s30, s26, s29
	s_mul_hi_u32 s0, s26, s28
	s_add_u32 s1, s30, s1
	s_addc_u32 s0, 0, s0
	s_mul_hi_u32 s31, s27, s29
	s_mul_i32 s29, s27, s29
	s_add_u32 s1, s1, s29
	s_mul_hi_u32 s30, s27, s28
	s_addc_u32 s0, s0, s31
	s_addc_u32 s1, s30, 0
	s_mul_i32 s28, s27, s28
	s_add_u32 s28, s0, s28
	s_addc_u32 s29, 0, s1
	s_mul_i32 s0, s22, s29
	s_mul_hi_u32 s1, s22, s28
	s_add_i32 s0, s1, s0
	s_mul_i32 s1, s23, s28
	s_add_i32 s30, s0, s1
	s_mul_i32 s1, s22, s28
	v_mov_b32_e32 v1, s1
	s_sub_i32 s0, s27, s30
	v_sub_co_u32_e32 v1, vcc, s26, v1
	s_cmp_lg_u64 vcc, 0
	s_subb_u32 s26, s0, s23
	v_subrev_co_u32_e64 v2, s[0:1], s22, v1
	s_cmp_lg_u64 s[0:1], 0
	s_subb_u32 s0, s26, 0
	s_cmp_ge_u32 s0, s23
	v_readfirstlane_b32 s26, v2
	s_cselect_b32 s1, -1, 0
	s_cmp_ge_u32 s26, s22
	s_cselect_b32 s26, -1, 0
	s_cmp_eq_u32 s0, s23
	s_cselect_b32 s0, s26, s1
	s_add_u32 s1, s28, 1
	s_addc_u32 s26, s29, 0
	s_add_u32 s31, s28, 2
	s_addc_u32 s33, s29, 0
	s_cmp_lg_u32 s0, 0
	s_cselect_b32 s0, s31, s1
	s_cselect_b32 s1, s33, s26
	s_cmp_lg_u64 vcc, 0
	s_subb_u32 s26, s27, s30
	s_cmp_ge_u32 s26, s23
	v_readfirstlane_b32 s30, v1
	s_cselect_b32 s27, -1, 0
	s_cmp_ge_u32 s30, s22
	s_cselect_b32 s22, -1, 0
	s_cmp_eq_u32 s26, s23
	s_cselect_b32 s22, s22, s27
	s_cmp_lg_u32 s22, 0
	s_cselect_b32 s1, s1, s29
	s_cselect_b32 s0, s0, s28
	s_xor_b64 s[2:3], s[24:25], s[2:3]
	s_xor_b64 s[0:1], s[0:1], s[2:3]
	s_sub_u32 s22, s0, s2
	s_subb_u32 s23, s1, s3
	s_cbranch_execnz .LBB3_6
.LBB3_5:
	v_cvt_f32_u32_e32 v1, s8
	s_sub_i32 s0, 0, s8
	s_mov_b32 s23, 0
	v_rcp_iflag_f32_e32 v1, v1
	v_mul_f32_e32 v1, 0x4f7ffffe, v1
	v_cvt_u32_f32_e32 v1, v1
	v_readfirstlane_b32 s1, v1
	s_mul_i32 s0, s0, s1
	s_mul_hi_u32 s0, s1, s0
	s_add_i32 s1, s1, s0
	s_mul_hi_u32 s0, s12, s1
	s_mul_i32 s2, s0, s8
	s_sub_i32 s2, s12, s2
	s_add_i32 s1, s0, 1
	s_sub_i32 s3, s2, s8
	s_cmp_ge_u32 s2, s8
	s_cselect_b32 s0, s1, s0
	s_cselect_b32 s2, s3, s2
	s_add_i32 s1, s0, 1
	s_cmp_ge_u32 s2, s8
	s_cselect_b32 s22, s1, s0
.LBB3_6:
	s_load_dword s24, s[4:5], 0x54
	s_load_dwordx4 s[0:3], s[4:5], 0x0
	s_load_dwordx2 s[20:21], s[4:5], 0x10
	v_mov_b32_e32 v1, 0
	v_cmp_gt_i64_e32 vcc, s[10:11], v[0:1]
	s_waitcnt lgkmcnt(0)
	s_and_b32 s24, s24, 0xffff
	v_pk_mov_b32 v[6:7], 0, 0
	s_and_saveexec_b64 s[4:5], vcc
	s_cbranch_execz .LBB3_10
; %bb.7:
	s_mul_i32 s15, s18, s15
	s_mul_hi_u32 s25, s18, s14
	s_add_i32 s15, s25, s15
	s_mul_i32 s25, s19, s14
	s_add_i32 s15, s15, s25
	s_mul_i32 s14, s18, s14
	s_lshl_b64 s[14:15], s[14:15], 3
	s_add_u32 s14, s2, s14
	s_addc_u32 s15, s3, s15
	s_mul_i32 s2, s22, s11
	s_mul_hi_u32 s3, s22, s10
	s_add_i32 s2, s3, s2
	s_mul_i32 s3, s23, s10
	s_add_i32 s3, s2, s3
	s_mul_i32 s2, s22, s10
	s_lshl_b64 s[2:3], s[2:3], 3
	s_add_u32 s14, s14, s2
	s_addc_u32 s15, s15, s3
	s_lshl_b64 s[2:3], s[10:11], 3
	s_add_u32 s2, s14, s2
	s_mul_i32 s17, s18, s17
	s_mul_hi_u32 s26, s18, s16
	s_addc_u32 s3, s15, s3
	s_add_i32 s17, s26, s17
	s_mul_i32 s19, s19, s16
	s_add_i32 s17, s17, s19
	s_mul_i32 s16, s18, s16
	s_lshl_b64 s[16:17], s[16:17], 3
	s_add_u32 s16, s20, s16
	s_mul_i32 s9, s22, s9
	s_mul_hi_u32 s18, s22, s8
	s_addc_u32 s17, s21, s17
	s_add_i32 s9, s18, s9
	s_mul_i32 s18, s23, s8
	s_add_i32 s9, s9, s18
	s_mul_i32 s8, s22, s8
	s_sub_u32 s8, s12, s8
	s_subb_u32 s9, s13, s9
	s_mul_i32 s11, s8, s11
	s_mul_hi_u32 s12, s8, s10
	s_add_i32 s11, s12, s11
	s_mul_i32 s9, s9, s10
	s_add_i32 s9, s11, s9
	s_mul_i32 s8, s8, s10
	s_lshl_b64 s[8:9], s[8:9], 3
	v_lshlrev_b32_e32 v2, 3, v0
	s_add_u32 s10, s16, s8
	s_mov_b32 s25, 0
	v_mov_b32_e32 v3, s15
	v_add_co_u32_e32 v4, vcc, s14, v2
	s_addc_u32 s12, s17, s9
	v_addc_co_u32_e32 v5, vcc, 0, v3, vcc
	s_lshl_b32 s11, s24, 3
	s_mov_b64 s[8:9], 0
	v_pk_mov_b32 v[6:7], 0, 0
	v_mov_b32_e32 v3, s12
	v_mov_b32_e32 v8, s15
	s_lshl_b32 s12, s24, 3
	v_mov_b32_e32 v9, s25
.LBB3_8:                                ; =>This Inner Loop Header: Depth=1
	v_add_co_u32_e32 v10, vcc, s10, v2
	v_addc_co_u32_e32 v11, vcc, v3, v1, vcc
	v_add_co_u32_e32 v12, vcc, s14, v2
	v_addc_co_u32_e32 v13, vcc, v8, v1, vcc
	global_load_dwordx2 v[14:15], v[12:13], off
	global_load_dwordx2 v[16:17], v[10:11], off
	v_add_co_u32_e32 v4, vcc, s12, v4
	v_addc_co_u32_e32 v5, vcc, 0, v5, vcc
	v_add_co_u32_e32 v2, vcc, s11, v2
	v_addc_co_u32_e32 v1, vcc, v1, v9, vcc
	v_cmp_le_u64_e32 vcc, s[2:3], v[4:5]
	s_or_b64 s[8:9], vcc, s[8:9]
	s_waitcnt vmcnt(0)
	v_add_f64 v[10:11], v[14:15], -v[16:17]
	v_fmac_f64_e32 v[6:7], v[10:11], v[10:11]
	s_andn2_b64 exec, exec, s[8:9]
	s_cbranch_execnz .LBB3_8
; %bb.9:
	s_or_b64 exec, exec, s[8:9]
.LBB3_10:
	s_or_b64 exec, exec, s[4:5]
	v_mbcnt_lo_u32_b32 v1, -1, 0
	v_mbcnt_hi_u32_b32 v10, -1, v1
	v_and_b32_e32 v12, 63, v10
	v_cmp_gt_u32_e32 vcc, 32, v12
	v_cndmask_b32_e64 v1, 0, 1, vcc
	v_lshlrev_b32_e32 v1, 5, v1
	v_add_lshl_u32 v1, v1, v10, 2
	ds_bpermute_b32 v2, v1, v6
	ds_bpermute_b32 v3, v1, v7
	v_cmp_gt_u32_e32 vcc, 48, v12
	v_cndmask_b32_e64 v4, 0, 1, vcc
	v_lshlrev_b32_e32 v4, 4, v4
	v_cmp_gt_u32_e32 vcc, 56, v12
	s_waitcnt lgkmcnt(0)
	v_add_f64 v[2:3], v[6:7], v[2:3]
	v_add_lshl_u32 v6, v4, v10, 2
	ds_bpermute_b32 v4, v6, v2
	ds_bpermute_b32 v5, v6, v3
	v_and_b32_e32 v11, 63, v0
	s_waitcnt lgkmcnt(0)
	s_barrier
	v_add_f64 v[2:3], v[2:3], v[4:5]
	v_cndmask_b32_e64 v4, 0, 1, vcc
	v_lshlrev_b32_e32 v4, 3, v4
	v_add_lshl_u32 v7, v4, v10, 2
	ds_bpermute_b32 v4, v7, v2
	ds_bpermute_b32 v5, v7, v3
	v_cmp_gt_u32_e32 vcc, 60, v12
	s_waitcnt lgkmcnt(0)
	v_add_f64 v[2:3], v[2:3], v[4:5]
	v_cndmask_b32_e64 v4, 0, 1, vcc
	v_lshlrev_b32_e32 v4, 2, v4
	v_add_lshl_u32 v8, v4, v10, 2
	ds_bpermute_b32 v4, v8, v2
	ds_bpermute_b32 v5, v8, v3
	v_cmp_gt_u32_e32 vcc, 62, v12
	s_waitcnt lgkmcnt(0)
	v_add_f64 v[2:3], v[2:3], v[4:5]
	v_cndmask_b32_e64 v4, 0, 1, vcc
	v_lshlrev_b32_e32 v4, 1, v4
	v_add_lshl_u32 v9, v4, v10, 2
	ds_bpermute_b32 v4, v9, v2
	ds_bpermute_b32 v5, v9, v3
	v_cmp_ne_u32_e32 vcc, 63, v12
	s_waitcnt lgkmcnt(0)
	v_add_f64 v[2:3], v[2:3], v[4:5]
	v_addc_co_u32_e32 v4, vcc, 0, v10, vcc
	v_lshlrev_b32_e32 v10, 2, v4
	ds_bpermute_b32 v4, v10, v2
	ds_bpermute_b32 v5, v10, v3
	v_cmp_eq_u32_e32 vcc, 0, v11
	s_and_saveexec_b64 s[2:3], vcc
	s_cbranch_execz .LBB3_12
; %bb.11:
	v_lshrrev_b32_e32 v12, 3, v0
	s_waitcnt lgkmcnt(0)
	v_add_f64 v[2:3], v[2:3], v[4:5]
	ds_write_b64 v12, v[2:3]
.LBB3_12:
	s_or_b64 exec, exec, s[2:3]
	s_lshr_b32 s2, s24, 6
	v_cmp_gt_u32_e32 vcc, s2, v0
	v_pk_mov_b32 v[2:3], 0, 0
	s_waitcnt lgkmcnt(0)
	s_barrier
	s_and_saveexec_b64 s[2:3], vcc
	s_cbranch_execnz .LBB3_16
; %bb.13:
	s_or_b64 exec, exec, s[2:3]
	v_cmp_gt_u32_e32 vcc, 64, v0
	s_and_saveexec_b64 s[2:3], vcc
	s_cbranch_execnz .LBB3_17
.LBB3_14:
	s_or_b64 exec, exec, s[2:3]
	v_cmp_eq_u32_e32 vcc, 0, v0
	s_and_saveexec_b64 s[2:3], vcc
	s_cbranch_execnz .LBB3_18
.LBB3_15:
	s_endpgm
.LBB3_16:
	v_lshlrev_b32_e32 v2, 3, v11
	ds_read_b64 v[2:3], v2
	s_or_b64 exec, exec, s[2:3]
	v_cmp_gt_u32_e32 vcc, 64, v0
	s_and_saveexec_b64 s[2:3], vcc
	s_cbranch_execz .LBB3_14
.LBB3_17:
	s_waitcnt lgkmcnt(0)
	ds_bpermute_b32 v4, v1, v2
	ds_bpermute_b32 v5, v1, v3
	s_waitcnt lgkmcnt(0)
	v_add_f64 v[2:3], v[2:3], v[4:5]
	ds_bpermute_b32 v4, v6, v2
	ds_bpermute_b32 v5, v6, v3
	s_waitcnt lgkmcnt(0)
	v_add_f64 v[2:3], v[2:3], v[4:5]
	;; [unrolled: 4-line block ×6, first 2 shown]
	s_or_b64 exec, exec, s[2:3]
	v_cmp_eq_u32_e32 vcc, 0, v0
	s_and_saveexec_b64 s[2:3], vcc
	s_cbranch_execz .LBB3_15
.LBB3_18:
	s_mov_b32 s4, 0
	s_brev_b32 s5, 8
	s_waitcnt lgkmcnt(0)
	v_cmp_gt_f64_e32 vcc, s[4:5], v[2:3]
	v_cndmask_b32_e64 v0, 0, 1, vcc
	v_lshlrev_b32_e32 v0, 8, v0
	v_ldexp_f64 v[0:1], v[2:3], v0
	v_rsq_f64_e32 v[2:3], v[0:1]
	s_lshl_b64 s[2:3], s[6:7], 3
	s_add_u32 s0, s0, s2
	s_addc_u32 s1, s1, s3
	v_mul_f64 v[4:5], v[0:1], v[2:3]
	v_mul_f64 v[2:3], v[2:3], 0.5
	v_fma_f64 v[6:7], -v[2:3], v[4:5], 0.5
	v_fmac_f64_e32 v[4:5], v[4:5], v[6:7]
	v_fma_f64 v[8:9], -v[4:5], v[4:5], v[0:1]
	v_fmac_f64_e32 v[2:3], v[2:3], v[6:7]
	v_fmac_f64_e32 v[4:5], v[8:9], v[2:3]
	v_fma_f64 v[6:7], -v[4:5], v[4:5], v[0:1]
	v_fmac_f64_e32 v[4:5], v[6:7], v[2:3]
	v_mov_b32_e32 v2, 0xffffff80
	v_cndmask_b32_e32 v2, 0, v2, vcc
	v_ldexp_f64 v[2:3], v[4:5], v2
	v_mov_b32_e32 v4, 0x260
	v_cmp_class_f64_e32 vcc, v[0:1], v4
	v_mov_b32_e32 v10, 0
	v_cndmask_b32_e32 v1, v3, v1, vcc
	v_cndmask_b32_e32 v0, v2, v0, vcc
	global_store_dwordx2 v10, v[0:1], s[0:1]
	s_endpgm
.LBB3_19:
                                        ; implicit-def: $sgpr18_sgpr19
	s_branch .LBB3_2
.LBB3_20:
                                        ; implicit-def: $sgpr22_sgpr23
	s_branch .LBB3_5
	.section	.rodata,"a",@progbits
	.p2align	6, 0x0
	.amdhsa_kernel _ZN2at6native12_GLOBAL__N_122cdist_kernel_cuda_implIdNS1_5distsIdE3twoEEEvPT_PKS6_S9_S6_lllll
		.amdhsa_group_segment_fixed_size 2048
		.amdhsa_private_segment_fixed_size 0
		.amdhsa_kernarg_size 328
		.amdhsa_user_sgpr_count 6
		.amdhsa_user_sgpr_private_segment_buffer 1
		.amdhsa_user_sgpr_dispatch_ptr 0
		.amdhsa_user_sgpr_queue_ptr 0
		.amdhsa_user_sgpr_kernarg_segment_ptr 1
		.amdhsa_user_sgpr_dispatch_id 0
		.amdhsa_user_sgpr_flat_scratch_init 0
		.amdhsa_user_sgpr_kernarg_preload_length 0
		.amdhsa_user_sgpr_kernarg_preload_offset 0
		.amdhsa_user_sgpr_private_segment_size 0
		.amdhsa_uses_dynamic_stack 0
		.amdhsa_system_sgpr_private_segment_wavefront_offset 0
		.amdhsa_system_sgpr_workgroup_id_x 1
		.amdhsa_system_sgpr_workgroup_id_y 0
		.amdhsa_system_sgpr_workgroup_id_z 0
		.amdhsa_system_sgpr_workgroup_info 0
		.amdhsa_system_vgpr_workitem_id 0
		.amdhsa_next_free_vgpr 18
		.amdhsa_next_free_sgpr 34
		.amdhsa_accum_offset 20
		.amdhsa_reserve_vcc 1
		.amdhsa_reserve_flat_scratch 0
		.amdhsa_float_round_mode_32 0
		.amdhsa_float_round_mode_16_64 0
		.amdhsa_float_denorm_mode_32 3
		.amdhsa_float_denorm_mode_16_64 3
		.amdhsa_dx10_clamp 1
		.amdhsa_ieee_mode 1
		.amdhsa_fp16_overflow 0
		.amdhsa_tg_split 0
		.amdhsa_exception_fp_ieee_invalid_op 0
		.amdhsa_exception_fp_denorm_src 0
		.amdhsa_exception_fp_ieee_div_zero 0
		.amdhsa_exception_fp_ieee_overflow 0
		.amdhsa_exception_fp_ieee_underflow 0
		.amdhsa_exception_fp_ieee_inexact 0
		.amdhsa_exception_int_div_zero 0
	.end_amdhsa_kernel
	.section	.text._ZN2at6native12_GLOBAL__N_122cdist_kernel_cuda_implIdNS1_5distsIdE3twoEEEvPT_PKS6_S9_S6_lllll,"axG",@progbits,_ZN2at6native12_GLOBAL__N_122cdist_kernel_cuda_implIdNS1_5distsIdE3twoEEEvPT_PKS6_S9_S6_lllll,comdat
.Lfunc_end3:
	.size	_ZN2at6native12_GLOBAL__N_122cdist_kernel_cuda_implIdNS1_5distsIdE3twoEEEvPT_PKS6_S9_S6_lllll, .Lfunc_end3-_ZN2at6native12_GLOBAL__N_122cdist_kernel_cuda_implIdNS1_5distsIdE3twoEEEvPT_PKS6_S9_S6_lllll
                                        ; -- End function
	.section	.AMDGPU.csdata,"",@progbits
; Kernel info:
; codeLenInByte = 2528
; NumSgprs: 38
; NumVgprs: 18
; NumAgprs: 0
; TotalNumVgprs: 18
; ScratchSize: 0
; MemoryBound: 0
; FloatMode: 240
; IeeeMode: 1
; LDSByteSize: 2048 bytes/workgroup (compile time only)
; SGPRBlocks: 4
; VGPRBlocks: 2
; NumSGPRsForWavesPerEU: 38
; NumVGPRsForWavesPerEU: 18
; AccumOffset: 20
; Occupancy: 8
; WaveLimiterHint : 0
; COMPUTE_PGM_RSRC2:SCRATCH_EN: 0
; COMPUTE_PGM_RSRC2:USER_SGPR: 6
; COMPUTE_PGM_RSRC2:TRAP_HANDLER: 0
; COMPUTE_PGM_RSRC2:TGID_X_EN: 1
; COMPUTE_PGM_RSRC2:TGID_Y_EN: 0
; COMPUTE_PGM_RSRC2:TGID_Z_EN: 0
; COMPUTE_PGM_RSRC2:TIDIG_COMP_CNT: 0
; COMPUTE_PGM_RSRC3_GFX90A:ACCUM_OFFSET: 4
; COMPUTE_PGM_RSRC3_GFX90A:TG_SPLIT: 0
	.section	.text._ZN2at6native12_GLOBAL__N_122cdist_kernel_cuda_implIdNS1_5distsIdE3infEEEvPT_PKS6_S9_S6_lllll,"axG",@progbits,_ZN2at6native12_GLOBAL__N_122cdist_kernel_cuda_implIdNS1_5distsIdE3infEEEvPT_PKS6_S9_S6_lllll,comdat
	.globl	_ZN2at6native12_GLOBAL__N_122cdist_kernel_cuda_implIdNS1_5distsIdE3infEEEvPT_PKS6_S9_S6_lllll ; -- Begin function _ZN2at6native12_GLOBAL__N_122cdist_kernel_cuda_implIdNS1_5distsIdE3infEEEvPT_PKS6_S9_S6_lllll
	.p2align	8
	.type	_ZN2at6native12_GLOBAL__N_122cdist_kernel_cuda_implIdNS1_5distsIdE3infEEEvPT_PKS6_S9_S6_lllll,@function
_ZN2at6native12_GLOBAL__N_122cdist_kernel_cuda_implIdNS1_5distsIdE3infEEEvPT_PKS6_S9_S6_lllll: ; @_ZN2at6native12_GLOBAL__N_122cdist_kernel_cuda_implIdNS1_5distsIdE3infEEEvPT_PKS6_S9_S6_lllll
; %bb.0:
	s_load_dwordx8 s[8:15], s[4:5], 0x20
	s_load_dwordx2 s[16:17], s[4:5], 0x40
	s_mov_b32 s7, 0
	s_mov_b32 s0, s7
	s_waitcnt lgkmcnt(0)
	s_mov_b32 s1, s13
	s_cmp_lg_u64 s[0:1], 0
	s_cbranch_scc0 .LBB4_19
; %bb.1:
	s_ashr_i32 s2, s13, 31
	s_add_u32 s0, s12, s2
	s_mov_b32 s3, s2
	s_addc_u32 s1, s13, s2
	s_xor_b64 s[18:19], s[0:1], s[2:3]
	v_cvt_f32_u32_e32 v1, s18
	v_cvt_f32_u32_e32 v2, s19
	s_sub_u32 s0, 0, s18
	s_subb_u32 s1, 0, s19
	v_madmk_f32 v1, v2, 0x4f800000, v1
	v_rcp_f32_e32 v1, v1
	v_mul_f32_e32 v1, 0x5f7ffffc, v1
	v_mul_f32_e32 v2, 0x2f800000, v1
	v_trunc_f32_e32 v2, v2
	v_madmk_f32 v1, v2, 0xcf800000, v1
	v_cvt_u32_f32_e32 v2, v2
	v_cvt_u32_f32_e32 v1, v1
	v_readfirstlane_b32 s22, v2
	v_readfirstlane_b32 s23, v1
	s_mul_i32 s24, s0, s22
	s_mul_hi_u32 s26, s0, s23
	s_mul_i32 s25, s1, s23
	s_add_i32 s24, s26, s24
	s_add_i32 s24, s24, s25
	s_mul_i32 s27, s0, s23
	s_mul_hi_u32 s25, s23, s24
	s_mul_i32 s26, s23, s24
	s_mul_hi_u32 s23, s23, s27
	s_add_u32 s23, s23, s26
	s_addc_u32 s25, 0, s25
	s_mul_hi_u32 s28, s22, s27
	s_mul_i32 s27, s22, s27
	s_add_u32 s23, s23, s27
	s_mul_hi_u32 s26, s22, s24
	s_addc_u32 s23, s25, s28
	s_addc_u32 s25, s26, 0
	s_mul_i32 s24, s22, s24
	s_add_u32 s23, s23, s24
	s_addc_u32 s24, 0, s25
	v_add_co_u32_e32 v1, vcc, s23, v1
	s_cmp_lg_u64 vcc, 0
	s_addc_u32 s22, s22, s24
	v_readfirstlane_b32 s24, v1
	s_mul_i32 s23, s0, s22
	s_mul_hi_u32 s25, s0, s24
	s_add_i32 s23, s25, s23
	s_mul_i32 s1, s1, s24
	s_add_i32 s23, s23, s1
	s_mul_i32 s0, s0, s24
	s_mul_hi_u32 s25, s22, s0
	s_mul_i32 s26, s22, s0
	s_mul_i32 s28, s24, s23
	s_mul_hi_u32 s0, s24, s0
	s_mul_hi_u32 s27, s24, s23
	s_add_u32 s0, s0, s28
	s_addc_u32 s24, 0, s27
	s_add_u32 s0, s0, s26
	s_mul_hi_u32 s1, s22, s23
	s_addc_u32 s0, s24, s25
	s_addc_u32 s1, s1, 0
	s_mul_i32 s23, s22, s23
	s_add_u32 s0, s0, s23
	s_addc_u32 s1, 0, s1
	v_add_co_u32_e32 v1, vcc, s0, v1
	s_cmp_lg_u64 vcc, 0
	s_addc_u32 s0, s22, s1
	v_readfirstlane_b32 s22, v1
	s_mul_hi_u32 s1, s6, s0
	s_mul_i32 s0, s6, s0
	s_mul_hi_u32 s22, s6, s22
	s_add_u32 s0, s22, s0
	s_addc_u32 s1, 0, s1
	s_add_u32 s0, s0, 0
	s_addc_u32 s0, s1, 0
	s_addc_u32 s1, 0, 0
	s_add_u32 s22, s0, 0
	s_addc_u32 s23, 0, s1
	s_mul_i32 s0, s18, s23
	s_mul_hi_u32 s1, s18, s22
	s_add_i32 s0, s1, s0
	s_mul_i32 s1, s19, s22
	s_add_i32 s24, s0, s1
	s_mul_i32 s1, s18, s22
	v_mov_b32_e32 v1, s1
	s_sub_i32 s0, 0, s24
	v_sub_co_u32_e32 v1, vcc, s6, v1
	s_cmp_lg_u64 vcc, 0
	s_subb_u32 s25, s0, s19
	v_subrev_co_u32_e64 v2, s[0:1], s18, v1
	s_cmp_lg_u64 s[0:1], 0
	s_subb_u32 s0, s25, 0
	s_cmp_ge_u32 s0, s19
	v_readfirstlane_b32 s25, v2
	s_cselect_b32 s1, -1, 0
	s_cmp_ge_u32 s25, s18
	s_cselect_b32 s25, -1, 0
	s_cmp_eq_u32 s0, s19
	s_cselect_b32 s0, s25, s1
	s_add_u32 s1, s22, 1
	s_addc_u32 s25, s23, 0
	s_add_u32 s26, s22, 2
	s_addc_u32 s27, s23, 0
	s_cmp_lg_u32 s0, 0
	s_cselect_b32 s0, s26, s1
	s_cselect_b32 s1, s27, s25
	s_cmp_lg_u64 vcc, 0
	s_subb_u32 s24, 0, s24
	s_cmp_ge_u32 s24, s19
	v_readfirstlane_b32 s26, v1
	s_cselect_b32 s25, -1, 0
	s_cmp_ge_u32 s26, s18
	s_cselect_b32 s18, -1, 0
	s_cmp_eq_u32 s24, s19
	s_cselect_b32 s18, s18, s25
	s_cmp_lg_u32 s18, 0
	s_cselect_b32 s1, s1, s23
	s_cselect_b32 s0, s0, s22
	s_xor_b64 s[0:1], s[0:1], s[2:3]
	s_sub_u32 s18, s0, s2
	s_subb_u32 s19, s1, s2
	s_cbranch_execnz .LBB4_3
.LBB4_2:
	v_cvt_f32_u32_e32 v1, s12
	s_sub_i32 s0, 0, s12
	s_mov_b32 s19, 0
	v_rcp_iflag_f32_e32 v1, v1
	v_mul_f32_e32 v1, 0x4f7ffffe, v1
	v_cvt_u32_f32_e32 v1, v1
	v_readfirstlane_b32 s1, v1
	s_mul_i32 s0, s0, s1
	s_mul_hi_u32 s0, s1, s0
	s_add_i32 s1, s1, s0
	s_mul_hi_u32 s0, s6, s1
	s_mul_i32 s2, s0, s12
	s_sub_i32 s2, s6, s2
	s_add_i32 s1, s0, 1
	s_sub_i32 s3, s2, s12
	s_cmp_ge_u32 s2, s12
	s_cselect_b32 s0, s1, s0
	s_cselect_b32 s2, s3, s2
	s_add_i32 s1, s0, 1
	s_cmp_ge_u32 s2, s12
	s_cselect_b32 s18, s1, s0
.LBB4_3:
	s_mul_i32 s0, s18, s13
	s_mul_hi_u32 s1, s18, s12
	s_add_i32 s0, s1, s0
	s_mul_i32 s1, s19, s12
	s_add_i32 s0, s0, s1
	s_mul_i32 s1, s18, s12
	s_sub_u32 s12, s6, s1
	s_subb_u32 s13, 0, s0
	s_or_b64 s[0:1], s[12:13], s[8:9]
	s_mov_b32 s0, 0
	s_cmp_lg_u64 s[0:1], 0
	s_cbranch_scc0 .LBB4_20
; %bb.4:
	s_ashr_i32 s2, s9, 31
	s_add_u32 s0, s8, s2
	s_mov_b32 s3, s2
	s_addc_u32 s1, s9, s2
	s_xor_b64 s[22:23], s[0:1], s[2:3]
	v_cvt_f32_u32_e32 v1, s22
	v_cvt_f32_u32_e32 v2, s23
	s_sub_u32 s0, 0, s22
	s_subb_u32 s1, 0, s23
	v_madmk_f32 v1, v2, 0x4f800000, v1
	v_rcp_f32_e32 v1, v1
	v_mul_f32_e32 v1, 0x5f7ffffc, v1
	v_mul_f32_e32 v2, 0x2f800000, v1
	v_trunc_f32_e32 v2, v2
	v_madmk_f32 v1, v2, 0xcf800000, v1
	v_cvt_u32_f32_e32 v2, v2
	v_cvt_u32_f32_e32 v1, v1
	v_readfirstlane_b32 s24, v2
	v_readfirstlane_b32 s25, v1
	s_mul_i32 s26, s0, s24
	s_mul_hi_u32 s28, s0, s25
	s_mul_i32 s27, s1, s25
	s_add_i32 s26, s28, s26
	s_add_i32 s26, s26, s27
	s_mul_i32 s29, s0, s25
	s_mul_hi_u32 s27, s25, s26
	s_mul_i32 s28, s25, s26
	s_mul_hi_u32 s25, s25, s29
	s_add_u32 s25, s25, s28
	s_addc_u32 s27, 0, s27
	s_mul_hi_u32 s30, s24, s29
	s_mul_i32 s29, s24, s29
	s_add_u32 s25, s25, s29
	s_mul_hi_u32 s28, s24, s26
	s_addc_u32 s25, s27, s30
	s_addc_u32 s27, s28, 0
	s_mul_i32 s26, s24, s26
	s_add_u32 s25, s25, s26
	s_addc_u32 s26, 0, s27
	v_add_co_u32_e32 v1, vcc, s25, v1
	s_cmp_lg_u64 vcc, 0
	s_addc_u32 s24, s24, s26
	v_readfirstlane_b32 s26, v1
	s_mul_i32 s25, s0, s24
	s_mul_hi_u32 s27, s0, s26
	s_add_i32 s25, s27, s25
	s_mul_i32 s1, s1, s26
	s_add_i32 s25, s25, s1
	s_mul_i32 s0, s0, s26
	s_mul_hi_u32 s27, s24, s0
	s_mul_i32 s28, s24, s0
	s_mul_i32 s30, s26, s25
	s_mul_hi_u32 s0, s26, s0
	s_mul_hi_u32 s29, s26, s25
	s_add_u32 s0, s0, s30
	s_addc_u32 s26, 0, s29
	s_add_u32 s0, s0, s28
	s_mul_hi_u32 s1, s24, s25
	s_addc_u32 s0, s26, s27
	s_addc_u32 s1, s1, 0
	s_mul_i32 s25, s24, s25
	s_add_u32 s0, s0, s25
	s_addc_u32 s1, 0, s1
	v_add_co_u32_e32 v1, vcc, s0, v1
	s_cmp_lg_u64 vcc, 0
	s_addc_u32 s28, s24, s1
	s_ashr_i32 s24, s13, 31
	s_add_u32 s0, s12, s24
	s_mov_b32 s25, s24
	s_addc_u32 s1, s13, s24
	s_xor_b64 s[26:27], s[0:1], s[24:25]
	v_readfirstlane_b32 s29, v1
	s_mul_i32 s1, s26, s28
	s_mul_hi_u32 s30, s26, s29
	s_mul_hi_u32 s0, s26, s28
	s_add_u32 s1, s30, s1
	s_addc_u32 s0, 0, s0
	s_mul_hi_u32 s31, s27, s29
	s_mul_i32 s29, s27, s29
	s_add_u32 s1, s1, s29
	s_mul_hi_u32 s30, s27, s28
	s_addc_u32 s0, s0, s31
	s_addc_u32 s1, s30, 0
	s_mul_i32 s28, s27, s28
	s_add_u32 s28, s0, s28
	s_addc_u32 s29, 0, s1
	s_mul_i32 s0, s22, s29
	s_mul_hi_u32 s1, s22, s28
	s_add_i32 s0, s1, s0
	s_mul_i32 s1, s23, s28
	s_add_i32 s30, s0, s1
	s_mul_i32 s1, s22, s28
	v_mov_b32_e32 v1, s1
	s_sub_i32 s0, s27, s30
	v_sub_co_u32_e32 v1, vcc, s26, v1
	s_cmp_lg_u64 vcc, 0
	s_subb_u32 s26, s0, s23
	v_subrev_co_u32_e64 v2, s[0:1], s22, v1
	s_cmp_lg_u64 s[0:1], 0
	s_subb_u32 s0, s26, 0
	s_cmp_ge_u32 s0, s23
	v_readfirstlane_b32 s26, v2
	s_cselect_b32 s1, -1, 0
	s_cmp_ge_u32 s26, s22
	s_cselect_b32 s26, -1, 0
	s_cmp_eq_u32 s0, s23
	s_cselect_b32 s0, s26, s1
	s_add_u32 s1, s28, 1
	s_addc_u32 s26, s29, 0
	s_add_u32 s31, s28, 2
	s_addc_u32 s33, s29, 0
	s_cmp_lg_u32 s0, 0
	s_cselect_b32 s0, s31, s1
	s_cselect_b32 s1, s33, s26
	s_cmp_lg_u64 vcc, 0
	s_subb_u32 s26, s27, s30
	s_cmp_ge_u32 s26, s23
	v_readfirstlane_b32 s30, v1
	s_cselect_b32 s27, -1, 0
	s_cmp_ge_u32 s30, s22
	s_cselect_b32 s22, -1, 0
	s_cmp_eq_u32 s26, s23
	s_cselect_b32 s22, s22, s27
	s_cmp_lg_u32 s22, 0
	s_cselect_b32 s1, s1, s29
	s_cselect_b32 s0, s0, s28
	s_xor_b64 s[2:3], s[24:25], s[2:3]
	s_xor_b64 s[0:1], s[0:1], s[2:3]
	s_sub_u32 s22, s0, s2
	s_subb_u32 s23, s1, s3
	s_cbranch_execnz .LBB4_6
.LBB4_5:
	v_cvt_f32_u32_e32 v1, s8
	s_sub_i32 s0, 0, s8
	s_mov_b32 s23, 0
	v_rcp_iflag_f32_e32 v1, v1
	v_mul_f32_e32 v1, 0x4f7ffffe, v1
	v_cvt_u32_f32_e32 v1, v1
	v_readfirstlane_b32 s1, v1
	s_mul_i32 s0, s0, s1
	s_mul_hi_u32 s0, s1, s0
	s_add_i32 s1, s1, s0
	s_mul_hi_u32 s0, s12, s1
	s_mul_i32 s2, s0, s8
	s_sub_i32 s2, s12, s2
	s_add_i32 s1, s0, 1
	s_sub_i32 s3, s2, s8
	s_cmp_ge_u32 s2, s8
	s_cselect_b32 s0, s1, s0
	s_cselect_b32 s2, s3, s2
	s_add_i32 s1, s0, 1
	s_cmp_ge_u32 s2, s8
	s_cselect_b32 s22, s1, s0
.LBB4_6:
	s_load_dword s24, s[4:5], 0x54
	s_load_dwordx4 s[0:3], s[4:5], 0x0
	s_load_dwordx2 s[20:21], s[4:5], 0x10
	v_mov_b32_e32 v1, 0
	v_cmp_gt_i64_e32 vcc, s[10:11], v[0:1]
	s_waitcnt lgkmcnt(0)
	s_and_b32 s24, s24, 0xffff
	v_pk_mov_b32 v[6:7], 0, 0
	s_and_saveexec_b64 s[4:5], vcc
	s_cbranch_execz .LBB4_10
; %bb.7:
	s_mul_i32 s15, s18, s15
	s_mul_hi_u32 s25, s18, s14
	s_add_i32 s15, s25, s15
	s_mul_i32 s25, s19, s14
	s_add_i32 s15, s15, s25
	s_mul_i32 s14, s18, s14
	s_lshl_b64 s[14:15], s[14:15], 3
	s_add_u32 s14, s2, s14
	s_addc_u32 s15, s3, s15
	s_mul_i32 s2, s22, s11
	s_mul_hi_u32 s3, s22, s10
	s_add_i32 s2, s3, s2
	s_mul_i32 s3, s23, s10
	s_add_i32 s3, s2, s3
	s_mul_i32 s2, s22, s10
	s_lshl_b64 s[2:3], s[2:3], 3
	s_add_u32 s14, s14, s2
	s_addc_u32 s15, s15, s3
	s_lshl_b64 s[2:3], s[10:11], 3
	s_add_u32 s2, s14, s2
	s_mul_i32 s17, s18, s17
	s_mul_hi_u32 s26, s18, s16
	s_addc_u32 s3, s15, s3
	s_add_i32 s17, s26, s17
	s_mul_i32 s19, s19, s16
	s_add_i32 s17, s17, s19
	s_mul_i32 s16, s18, s16
	s_lshl_b64 s[16:17], s[16:17], 3
	s_add_u32 s16, s20, s16
	s_mul_i32 s9, s22, s9
	s_mul_hi_u32 s18, s22, s8
	s_addc_u32 s17, s21, s17
	s_add_i32 s9, s18, s9
	s_mul_i32 s18, s23, s8
	s_add_i32 s9, s9, s18
	s_mul_i32 s8, s22, s8
	s_sub_u32 s8, s12, s8
	s_subb_u32 s9, s13, s9
	s_mul_i32 s11, s8, s11
	s_mul_hi_u32 s12, s8, s10
	s_add_i32 s11, s12, s11
	s_mul_i32 s9, s9, s10
	s_add_i32 s9, s11, s9
	s_mul_i32 s8, s8, s10
	s_lshl_b64 s[8:9], s[8:9], 3
	v_lshlrev_b32_e32 v2, 3, v0
	s_add_u32 s10, s16, s8
	s_mov_b32 s25, 0
	v_mov_b32_e32 v3, s15
	v_add_co_u32_e32 v4, vcc, s14, v2
	s_addc_u32 s12, s17, s9
	v_addc_co_u32_e32 v5, vcc, 0, v3, vcc
	s_lshl_b32 s11, s24, 3
	s_mov_b64 s[8:9], 0
	v_pk_mov_b32 v[6:7], 0, 0
	v_mov_b32_e32 v3, s12
	v_mov_b32_e32 v8, s15
	s_lshl_b32 s12, s24, 3
	v_mov_b32_e32 v9, s25
.LBB4_8:                                ; =>This Inner Loop Header: Depth=1
	v_add_co_u32_e32 v10, vcc, s10, v2
	v_addc_co_u32_e32 v11, vcc, v3, v1, vcc
	v_add_co_u32_e32 v12, vcc, s14, v2
	v_addc_co_u32_e32 v13, vcc, v8, v1, vcc
	global_load_dwordx2 v[14:15], v[12:13], off
	global_load_dwordx2 v[16:17], v[10:11], off
	v_add_co_u32_e32 v4, vcc, s12, v4
	v_addc_co_u32_e32 v5, vcc, 0, v5, vcc
	v_add_co_u32_e32 v2, vcc, s11, v2
	v_addc_co_u32_e32 v1, vcc, v1, v9, vcc
	v_cmp_le_u64_e32 vcc, s[2:3], v[4:5]
	s_or_b64 s[8:9], vcc, s[8:9]
	s_waitcnt vmcnt(0)
	v_add_f64 v[10:11], v[14:15], -v[16:17]
	v_and_b32_e32 v12, 0x7fffffff, v11
	v_cmp_lt_f64_e64 vcc, v[6:7], |v[10:11]|
	v_cndmask_b32_e32 v7, v7, v12, vcc
	v_cndmask_b32_e32 v6, v6, v10, vcc
	s_andn2_b64 exec, exec, s[8:9]
	s_cbranch_execnz .LBB4_8
; %bb.9:
	s_or_b64 exec, exec, s[8:9]
.LBB4_10:
	s_or_b64 exec, exec, s[4:5]
	v_mbcnt_lo_u32_b32 v1, -1, 0
	v_mbcnt_hi_u32_b32 v10, -1, v1
	v_and_b32_e32 v12, 63, v10
	v_cmp_gt_u32_e32 vcc, 32, v12
	v_cndmask_b32_e64 v1, 0, 1, vcc
	v_lshlrev_b32_e32 v1, 5, v1
	v_add_lshl_u32 v1, v1, v10, 2
	ds_bpermute_b32 v2, v1, v6
	ds_bpermute_b32 v3, v1, v7
	v_and_b32_e32 v11, 63, v0
	s_waitcnt lgkmcnt(0)
	s_barrier
	v_cmp_lt_f64_e32 vcc, v[6:7], v[2:3]
	v_cndmask_b32_e32 v3, v7, v3, vcc
	v_cndmask_b32_e32 v2, v6, v2, vcc
	v_cmp_gt_u32_e32 vcc, 48, v12
	v_cndmask_b32_e64 v4, 0, 1, vcc
	v_lshlrev_b32_e32 v4, 4, v4
	v_add_lshl_u32 v6, v4, v10, 2
	ds_bpermute_b32 v5, v6, v3
	ds_bpermute_b32 v4, v6, v2
	s_waitcnt lgkmcnt(0)
	v_cmp_lt_f64_e32 vcc, v[2:3], v[4:5]
	v_cndmask_b32_e32 v3, v3, v5, vcc
	v_cndmask_b32_e32 v2, v2, v4, vcc
	v_cmp_gt_u32_e32 vcc, 56, v12
	v_cndmask_b32_e64 v4, 0, 1, vcc
	v_lshlrev_b32_e32 v4, 3, v4
	v_add_lshl_u32 v7, v4, v10, 2
	ds_bpermute_b32 v4, v7, v2
	ds_bpermute_b32 v5, v7, v3
	s_waitcnt lgkmcnt(0)
	;; [unrolled: 10-line block ×4, first 2 shown]
	v_cmp_lt_f64_e32 vcc, v[2:3], v[4:5]
	v_cndmask_b32_e32 v3, v3, v5, vcc
	v_cndmask_b32_e32 v2, v2, v4, vcc
	v_cmp_ne_u32_e32 vcc, 63, v12
	v_addc_co_u32_e32 v4, vcc, 0, v10, vcc
	v_lshlrev_b32_e32 v10, 2, v4
	ds_bpermute_b32 v4, v10, v2
	ds_bpermute_b32 v5, v10, v3
	v_cmp_eq_u32_e32 vcc, 0, v11
	s_and_saveexec_b64 s[2:3], vcc
	s_cbranch_execz .LBB4_12
; %bb.11:
	s_waitcnt lgkmcnt(0)
	v_cmp_lt_f64_e32 vcc, v[2:3], v[4:5]
	v_lshrrev_b32_e32 v12, 3, v0
	v_cndmask_b32_e32 v3, v3, v5, vcc
	v_cndmask_b32_e32 v2, v2, v4, vcc
	ds_write_b64 v12, v[2:3]
.LBB4_12:
	s_or_b64 exec, exec, s[2:3]
	s_lshr_b32 s2, s24, 6
	v_cmp_gt_u32_e32 vcc, s2, v0
	v_pk_mov_b32 v[2:3], 0, 0
	s_waitcnt lgkmcnt(0)
	s_barrier
	s_and_saveexec_b64 s[2:3], vcc
	s_cbranch_execnz .LBB4_16
; %bb.13:
	s_or_b64 exec, exec, s[2:3]
	v_cmp_gt_u32_e32 vcc, 64, v0
	s_and_saveexec_b64 s[2:3], vcc
	s_cbranch_execnz .LBB4_17
.LBB4_14:
	s_or_b64 exec, exec, s[2:3]
	v_cmp_eq_u32_e32 vcc, 0, v0
	s_and_saveexec_b64 s[2:3], vcc
	s_cbranch_execnz .LBB4_18
.LBB4_15:
	s_endpgm
.LBB4_16:
	v_lshlrev_b32_e32 v2, 3, v11
	ds_read_b64 v[2:3], v2
	s_or_b64 exec, exec, s[2:3]
	v_cmp_gt_u32_e32 vcc, 64, v0
	s_and_saveexec_b64 s[2:3], vcc
	s_cbranch_execz .LBB4_14
.LBB4_17:
	s_waitcnt lgkmcnt(0)
	ds_bpermute_b32 v4, v1, v2
	ds_bpermute_b32 v5, v1, v3
	s_waitcnt lgkmcnt(0)
	v_cmp_lt_f64_e32 vcc, v[2:3], v[4:5]
	v_cndmask_b32_e32 v3, v3, v5, vcc
	v_cndmask_b32_e32 v2, v2, v4, vcc
	ds_bpermute_b32 v5, v6, v3
	ds_bpermute_b32 v4, v6, v2
	s_waitcnt lgkmcnt(0)
	v_cmp_lt_f64_e32 vcc, v[2:3], v[4:5]
	v_cndmask_b32_e32 v3, v3, v5, vcc
	v_cndmask_b32_e32 v2, v2, v4, vcc
	;; [unrolled: 6-line block ×6, first 2 shown]
	s_or_b64 exec, exec, s[2:3]
	v_cmp_eq_u32_e32 vcc, 0, v0
	s_and_saveexec_b64 s[2:3], vcc
	s_cbranch_execz .LBB4_15
.LBB4_18:
	s_lshl_b64 s[2:3], s[6:7], 3
	s_add_u32 s0, s0, s2
	s_addc_u32 s1, s1, s3
	v_mov_b32_e32 v0, 0
	s_waitcnt lgkmcnt(0)
	global_store_dwordx2 v0, v[2:3], s[0:1]
	s_endpgm
.LBB4_19:
                                        ; implicit-def: $sgpr18_sgpr19
	s_branch .LBB4_2
.LBB4_20:
                                        ; implicit-def: $sgpr22_sgpr23
	s_branch .LBB4_5
	.section	.rodata,"a",@progbits
	.p2align	6, 0x0
	.amdhsa_kernel _ZN2at6native12_GLOBAL__N_122cdist_kernel_cuda_implIdNS1_5distsIdE3infEEEvPT_PKS6_S9_S6_lllll
		.amdhsa_group_segment_fixed_size 2048
		.amdhsa_private_segment_fixed_size 0
		.amdhsa_kernarg_size 328
		.amdhsa_user_sgpr_count 6
		.amdhsa_user_sgpr_private_segment_buffer 1
		.amdhsa_user_sgpr_dispatch_ptr 0
		.amdhsa_user_sgpr_queue_ptr 0
		.amdhsa_user_sgpr_kernarg_segment_ptr 1
		.amdhsa_user_sgpr_dispatch_id 0
		.amdhsa_user_sgpr_flat_scratch_init 0
		.amdhsa_user_sgpr_kernarg_preload_length 0
		.amdhsa_user_sgpr_kernarg_preload_offset 0
		.amdhsa_user_sgpr_private_segment_size 0
		.amdhsa_uses_dynamic_stack 0
		.amdhsa_system_sgpr_private_segment_wavefront_offset 0
		.amdhsa_system_sgpr_workgroup_id_x 1
		.amdhsa_system_sgpr_workgroup_id_y 0
		.amdhsa_system_sgpr_workgroup_id_z 0
		.amdhsa_system_sgpr_workgroup_info 0
		.amdhsa_system_vgpr_workitem_id 0
		.amdhsa_next_free_vgpr 18
		.amdhsa_next_free_sgpr 34
		.amdhsa_accum_offset 20
		.amdhsa_reserve_vcc 1
		.amdhsa_reserve_flat_scratch 0
		.amdhsa_float_round_mode_32 0
		.amdhsa_float_round_mode_16_64 0
		.amdhsa_float_denorm_mode_32 3
		.amdhsa_float_denorm_mode_16_64 3
		.amdhsa_dx10_clamp 1
		.amdhsa_ieee_mode 1
		.amdhsa_fp16_overflow 0
		.amdhsa_tg_split 0
		.amdhsa_exception_fp_ieee_invalid_op 0
		.amdhsa_exception_fp_denorm_src 0
		.amdhsa_exception_fp_ieee_div_zero 0
		.amdhsa_exception_fp_ieee_overflow 0
		.amdhsa_exception_fp_ieee_underflow 0
		.amdhsa_exception_fp_ieee_inexact 0
		.amdhsa_exception_int_div_zero 0
	.end_amdhsa_kernel
	.section	.text._ZN2at6native12_GLOBAL__N_122cdist_kernel_cuda_implIdNS1_5distsIdE3infEEEvPT_PKS6_S9_S6_lllll,"axG",@progbits,_ZN2at6native12_GLOBAL__N_122cdist_kernel_cuda_implIdNS1_5distsIdE3infEEEvPT_PKS6_S9_S6_lllll,comdat
.Lfunc_end4:
	.size	_ZN2at6native12_GLOBAL__N_122cdist_kernel_cuda_implIdNS1_5distsIdE3infEEEvPT_PKS6_S9_S6_lllll, .Lfunc_end4-_ZN2at6native12_GLOBAL__N_122cdist_kernel_cuda_implIdNS1_5distsIdE3infEEEvPT_PKS6_S9_S6_lllll
                                        ; -- End function
	.section	.AMDGPU.csdata,"",@progbits
; Kernel info:
; codeLenInByte = 2464
; NumSgprs: 38
; NumVgprs: 18
; NumAgprs: 0
; TotalNumVgprs: 18
; ScratchSize: 0
; MemoryBound: 0
; FloatMode: 240
; IeeeMode: 1
; LDSByteSize: 2048 bytes/workgroup (compile time only)
; SGPRBlocks: 4
; VGPRBlocks: 2
; NumSGPRsForWavesPerEU: 38
; NumVGPRsForWavesPerEU: 18
; AccumOffset: 20
; Occupancy: 8
; WaveLimiterHint : 0
; COMPUTE_PGM_RSRC2:SCRATCH_EN: 0
; COMPUTE_PGM_RSRC2:USER_SGPR: 6
; COMPUTE_PGM_RSRC2:TRAP_HANDLER: 0
; COMPUTE_PGM_RSRC2:TGID_X_EN: 1
; COMPUTE_PGM_RSRC2:TGID_Y_EN: 0
; COMPUTE_PGM_RSRC2:TGID_Z_EN: 0
; COMPUTE_PGM_RSRC2:TIDIG_COMP_CNT: 0
; COMPUTE_PGM_RSRC3_GFX90A:ACCUM_OFFSET: 4
; COMPUTE_PGM_RSRC3_GFX90A:TG_SPLIT: 0
	.section	.text._ZN2at6native12_GLOBAL__N_122cdist_kernel_cuda_implIfNS1_5distsIfE1pEEEvPT_PKS6_S9_S6_lllll,"axG",@progbits,_ZN2at6native12_GLOBAL__N_122cdist_kernel_cuda_implIfNS1_5distsIfE1pEEEvPT_PKS6_S9_S6_lllll,comdat
	.globl	_ZN2at6native12_GLOBAL__N_122cdist_kernel_cuda_implIfNS1_5distsIfE1pEEEvPT_PKS6_S9_S6_lllll ; -- Begin function _ZN2at6native12_GLOBAL__N_122cdist_kernel_cuda_implIfNS1_5distsIfE1pEEEvPT_PKS6_S9_S6_lllll
	.p2align	8
	.type	_ZN2at6native12_GLOBAL__N_122cdist_kernel_cuda_implIfNS1_5distsIfE1pEEEvPT_PKS6_S9_S6_lllll,@function
_ZN2at6native12_GLOBAL__N_122cdist_kernel_cuda_implIfNS1_5distsIfE1pEEEvPT_PKS6_S9_S6_lllll: ; @_ZN2at6native12_GLOBAL__N_122cdist_kernel_cuda_implIfNS1_5distsIfE1pEEEvPT_PKS6_S9_S6_lllll
; %bb.0:
	s_load_dwordx8 s[8:15], s[4:5], 0x20
	s_load_dwordx2 s[2:3], s[4:5], 0x40
	s_mov_b32 s7, 0
	s_mov_b32 s0, s7
	s_waitcnt lgkmcnt(0)
	s_mov_b32 s1, s13
	s_cmp_lg_u64 s[0:1], 0
	s_cbranch_scc0 .LBB5_19
; %bb.1:
	s_ashr_i32 s16, s13, 31
	s_add_u32 s0, s12, s16
	s_mov_b32 s17, s16
	s_addc_u32 s1, s13, s16
	s_xor_b64 s[20:21], s[0:1], s[16:17]
	v_cvt_f32_u32_e32 v1, s20
	v_cvt_f32_u32_e32 v2, s21
	s_sub_u32 s0, 0, s20
	s_subb_u32 s1, 0, s21
	v_madmk_f32 v1, v2, 0x4f800000, v1
	v_rcp_f32_e32 v1, v1
	v_mul_f32_e32 v1, 0x5f7ffffc, v1
	v_mul_f32_e32 v2, 0x2f800000, v1
	v_trunc_f32_e32 v2, v2
	v_madmk_f32 v1, v2, 0xcf800000, v1
	v_cvt_u32_f32_e32 v2, v2
	v_cvt_u32_f32_e32 v1, v1
	v_readfirstlane_b32 s22, v2
	v_readfirstlane_b32 s23, v1
	s_mul_i32 s24, s0, s22
	s_mul_hi_u32 s26, s0, s23
	s_mul_i32 s25, s1, s23
	s_add_i32 s24, s26, s24
	s_add_i32 s24, s24, s25
	s_mul_i32 s27, s0, s23
	s_mul_hi_u32 s25, s23, s24
	s_mul_i32 s26, s23, s24
	s_mul_hi_u32 s23, s23, s27
	s_add_u32 s23, s23, s26
	s_addc_u32 s25, 0, s25
	s_mul_hi_u32 s28, s22, s27
	s_mul_i32 s27, s22, s27
	s_add_u32 s23, s23, s27
	s_mul_hi_u32 s26, s22, s24
	s_addc_u32 s23, s25, s28
	s_addc_u32 s25, s26, 0
	s_mul_i32 s24, s22, s24
	s_add_u32 s23, s23, s24
	s_addc_u32 s24, 0, s25
	v_add_co_u32_e32 v1, vcc, s23, v1
	s_cmp_lg_u64 vcc, 0
	s_addc_u32 s22, s22, s24
	v_readfirstlane_b32 s24, v1
	s_mul_i32 s23, s0, s22
	s_mul_hi_u32 s25, s0, s24
	s_add_i32 s23, s25, s23
	s_mul_i32 s1, s1, s24
	s_add_i32 s23, s23, s1
	s_mul_i32 s0, s0, s24
	s_mul_hi_u32 s25, s22, s0
	s_mul_i32 s26, s22, s0
	s_mul_i32 s28, s24, s23
	s_mul_hi_u32 s0, s24, s0
	s_mul_hi_u32 s27, s24, s23
	s_add_u32 s0, s0, s28
	s_addc_u32 s24, 0, s27
	s_add_u32 s0, s0, s26
	s_mul_hi_u32 s1, s22, s23
	s_addc_u32 s0, s24, s25
	s_addc_u32 s1, s1, 0
	s_mul_i32 s23, s22, s23
	s_add_u32 s0, s0, s23
	s_addc_u32 s1, 0, s1
	v_add_co_u32_e32 v1, vcc, s0, v1
	s_cmp_lg_u64 vcc, 0
	s_addc_u32 s0, s22, s1
	v_readfirstlane_b32 s22, v1
	s_mul_hi_u32 s1, s6, s0
	s_mul_i32 s0, s6, s0
	s_mul_hi_u32 s22, s6, s22
	s_add_u32 s0, s22, s0
	s_addc_u32 s1, 0, s1
	s_add_u32 s0, s0, 0
	s_addc_u32 s0, s1, 0
	s_addc_u32 s1, 0, 0
	s_add_u32 s22, s0, 0
	s_addc_u32 s23, 0, s1
	s_mul_i32 s0, s20, s23
	s_mul_hi_u32 s1, s20, s22
	s_add_i32 s0, s1, s0
	s_mul_i32 s1, s21, s22
	s_add_i32 s24, s0, s1
	s_mul_i32 s1, s20, s22
	v_mov_b32_e32 v1, s1
	s_sub_i32 s0, 0, s24
	v_sub_co_u32_e32 v1, vcc, s6, v1
	s_cmp_lg_u64 vcc, 0
	s_subb_u32 s25, s0, s21
	v_subrev_co_u32_e64 v2, s[0:1], s20, v1
	s_cmp_lg_u64 s[0:1], 0
	s_subb_u32 s0, s25, 0
	s_cmp_ge_u32 s0, s21
	v_readfirstlane_b32 s25, v2
	s_cselect_b32 s1, -1, 0
	s_cmp_ge_u32 s25, s20
	s_cselect_b32 s25, -1, 0
	s_cmp_eq_u32 s0, s21
	s_cselect_b32 s0, s25, s1
	s_add_u32 s1, s22, 1
	s_addc_u32 s25, s23, 0
	s_add_u32 s26, s22, 2
	s_addc_u32 s27, s23, 0
	s_cmp_lg_u32 s0, 0
	s_cselect_b32 s0, s26, s1
	s_cselect_b32 s1, s27, s25
	s_cmp_lg_u64 vcc, 0
	s_subb_u32 s24, 0, s24
	s_cmp_ge_u32 s24, s21
	v_readfirstlane_b32 s26, v1
	s_cselect_b32 s25, -1, 0
	s_cmp_ge_u32 s26, s20
	s_cselect_b32 s20, -1, 0
	s_cmp_eq_u32 s24, s21
	s_cselect_b32 s20, s20, s25
	s_cmp_lg_u32 s20, 0
	s_cselect_b32 s1, s1, s23
	s_cselect_b32 s0, s0, s22
	s_xor_b64 s[0:1], s[0:1], s[16:17]
	s_sub_u32 s22, s0, s16
	s_subb_u32 s23, s1, s16
	s_cbranch_execnz .LBB5_3
.LBB5_2:
	v_cvt_f32_u32_e32 v1, s12
	s_sub_i32 s0, 0, s12
	s_mov_b32 s23, 0
	v_rcp_iflag_f32_e32 v1, v1
	v_mul_f32_e32 v1, 0x4f7ffffe, v1
	v_cvt_u32_f32_e32 v1, v1
	v_readfirstlane_b32 s1, v1
	s_mul_i32 s0, s0, s1
	s_mul_hi_u32 s0, s1, s0
	s_add_i32 s1, s1, s0
	s_mul_hi_u32 s0, s6, s1
	s_mul_i32 s16, s0, s12
	s_sub_i32 s16, s6, s16
	s_add_i32 s1, s0, 1
	s_sub_i32 s17, s16, s12
	s_cmp_ge_u32 s16, s12
	s_cselect_b32 s0, s1, s0
	s_cselect_b32 s16, s17, s16
	s_add_i32 s1, s0, 1
	s_cmp_ge_u32 s16, s12
	s_cselect_b32 s22, s1, s0
.LBB5_3:
	s_mul_i32 s0, s22, s13
	s_mul_hi_u32 s1, s22, s12
	s_add_i32 s0, s1, s0
	s_mul_i32 s1, s23, s12
	s_add_i32 s0, s0, s1
	s_mul_i32 s1, s22, s12
	s_sub_u32 s12, s6, s1
	s_subb_u32 s13, 0, s0
	s_or_b64 s[0:1], s[12:13], s[8:9]
	s_mov_b32 s0, 0
	s_cmp_lg_u64 s[0:1], 0
	s_cbranch_scc0 .LBB5_20
; %bb.4:
	s_ashr_i32 s16, s9, 31
	s_add_u32 s0, s8, s16
	s_mov_b32 s17, s16
	s_addc_u32 s1, s9, s16
	s_xor_b64 s[20:21], s[0:1], s[16:17]
	v_cvt_f32_u32_e32 v1, s20
	v_cvt_f32_u32_e32 v2, s21
	s_sub_u32 s0, 0, s20
	s_subb_u32 s1, 0, s21
	v_madmk_f32 v1, v2, 0x4f800000, v1
	v_rcp_f32_e32 v1, v1
	v_mul_f32_e32 v1, 0x5f7ffffc, v1
	v_mul_f32_e32 v2, 0x2f800000, v1
	v_trunc_f32_e32 v2, v2
	v_madmk_f32 v1, v2, 0xcf800000, v1
	v_cvt_u32_f32_e32 v2, v2
	v_cvt_u32_f32_e32 v1, v1
	v_readfirstlane_b32 s24, v2
	v_readfirstlane_b32 s25, v1
	s_mul_i32 s26, s0, s24
	s_mul_hi_u32 s28, s0, s25
	s_mul_i32 s27, s1, s25
	s_add_i32 s26, s28, s26
	s_add_i32 s26, s26, s27
	s_mul_i32 s29, s0, s25
	s_mul_hi_u32 s27, s25, s26
	s_mul_i32 s28, s25, s26
	s_mul_hi_u32 s25, s25, s29
	s_add_u32 s25, s25, s28
	s_addc_u32 s27, 0, s27
	s_mul_hi_u32 s30, s24, s29
	s_mul_i32 s29, s24, s29
	s_add_u32 s25, s25, s29
	s_mul_hi_u32 s28, s24, s26
	s_addc_u32 s25, s27, s30
	s_addc_u32 s27, s28, 0
	s_mul_i32 s26, s24, s26
	s_add_u32 s25, s25, s26
	s_addc_u32 s26, 0, s27
	v_add_co_u32_e32 v1, vcc, s25, v1
	s_cmp_lg_u64 vcc, 0
	s_addc_u32 s24, s24, s26
	v_readfirstlane_b32 s26, v1
	s_mul_i32 s25, s0, s24
	s_mul_hi_u32 s27, s0, s26
	s_add_i32 s25, s27, s25
	s_mul_i32 s1, s1, s26
	s_add_i32 s25, s25, s1
	s_mul_i32 s0, s0, s26
	s_mul_hi_u32 s27, s24, s0
	s_mul_i32 s28, s24, s0
	s_mul_i32 s30, s26, s25
	s_mul_hi_u32 s0, s26, s0
	s_mul_hi_u32 s29, s26, s25
	s_add_u32 s0, s0, s30
	s_addc_u32 s26, 0, s29
	s_add_u32 s0, s0, s28
	s_mul_hi_u32 s1, s24, s25
	s_addc_u32 s0, s26, s27
	s_addc_u32 s1, s1, 0
	s_mul_i32 s25, s24, s25
	s_add_u32 s0, s0, s25
	s_addc_u32 s1, 0, s1
	v_add_co_u32_e32 v1, vcc, s0, v1
	s_cmp_lg_u64 vcc, 0
	s_addc_u32 s28, s24, s1
	s_ashr_i32 s24, s13, 31
	s_add_u32 s0, s12, s24
	s_mov_b32 s25, s24
	s_addc_u32 s1, s13, s24
	s_xor_b64 s[26:27], s[0:1], s[24:25]
	v_readfirstlane_b32 s29, v1
	s_mul_i32 s1, s26, s28
	s_mul_hi_u32 s30, s26, s29
	s_mul_hi_u32 s0, s26, s28
	s_add_u32 s1, s30, s1
	s_addc_u32 s0, 0, s0
	s_mul_hi_u32 s31, s27, s29
	s_mul_i32 s29, s27, s29
	s_add_u32 s1, s1, s29
	s_mul_hi_u32 s30, s27, s28
	s_addc_u32 s0, s0, s31
	s_addc_u32 s1, s30, 0
	s_mul_i32 s28, s27, s28
	s_add_u32 s28, s0, s28
	s_addc_u32 s29, 0, s1
	s_mul_i32 s0, s20, s29
	s_mul_hi_u32 s1, s20, s28
	s_add_i32 s0, s1, s0
	s_mul_i32 s1, s21, s28
	s_add_i32 s30, s0, s1
	s_mul_i32 s1, s20, s28
	v_mov_b32_e32 v1, s1
	s_sub_i32 s0, s27, s30
	v_sub_co_u32_e32 v1, vcc, s26, v1
	s_cmp_lg_u64 vcc, 0
	s_subb_u32 s26, s0, s21
	v_subrev_co_u32_e64 v2, s[0:1], s20, v1
	s_cmp_lg_u64 s[0:1], 0
	s_subb_u32 s0, s26, 0
	s_cmp_ge_u32 s0, s21
	v_readfirstlane_b32 s26, v2
	s_cselect_b32 s1, -1, 0
	s_cmp_ge_u32 s26, s20
	s_cselect_b32 s26, -1, 0
	s_cmp_eq_u32 s0, s21
	s_cselect_b32 s0, s26, s1
	s_add_u32 s1, s28, 1
	s_addc_u32 s26, s29, 0
	s_add_u32 s31, s28, 2
	s_addc_u32 s33, s29, 0
	s_cmp_lg_u32 s0, 0
	s_cselect_b32 s0, s31, s1
	s_cselect_b32 s1, s33, s26
	s_cmp_lg_u64 vcc, 0
	s_subb_u32 s26, s27, s30
	s_cmp_ge_u32 s26, s21
	v_readfirstlane_b32 s30, v1
	s_cselect_b32 s27, -1, 0
	s_cmp_ge_u32 s30, s20
	s_cselect_b32 s20, -1, 0
	s_cmp_eq_u32 s26, s21
	s_cselect_b32 s20, s20, s27
	s_cmp_lg_u32 s20, 0
	s_cselect_b32 s1, s1, s29
	s_cselect_b32 s0, s0, s28
	s_xor_b64 s[16:17], s[24:25], s[16:17]
	s_xor_b64 s[0:1], s[0:1], s[16:17]
	s_sub_u32 s0, s0, s16
	s_subb_u32 s1, s1, s17
	s_cbranch_execnz .LBB5_6
.LBB5_5:
	v_cvt_f32_u32_e32 v1, s8
	s_sub_i32 s0, 0, s8
	s_mov_b32 s1, 0
	v_rcp_iflag_f32_e32 v1, v1
	v_mul_f32_e32 v1, 0x4f7ffffe, v1
	v_cvt_u32_f32_e32 v1, v1
	v_readfirstlane_b32 s16, v1
	s_mul_i32 s0, s0, s16
	s_mul_hi_u32 s0, s16, s0
	s_add_i32 s16, s16, s0
	s_mul_hi_u32 s0, s12, s16
	s_mul_i32 s17, s0, s8
	s_sub_i32 s17, s12, s17
	s_add_i32 s16, s0, 1
	s_sub_i32 s18, s17, s8
	s_cmp_ge_u32 s17, s8
	s_cselect_b32 s0, s16, s0
	s_cselect_b32 s17, s18, s17
	s_add_i32 s16, s0, 1
	s_cmp_ge_u32 s17, s8
	s_cselect_b32 s0, s16, s0
.LBB5_6:
	s_load_dword s26, s[4:5], 0x18
	s_load_dword s20, s[4:5], 0x54
	s_load_dwordx4 s[16:19], s[4:5], 0x0
	s_load_dwordx2 s[24:25], s[4:5], 0x10
	v_mov_b32_e32 v1, 0
	v_cmp_gt_i64_e32 vcc, s[10:11], v[0:1]
	s_waitcnt lgkmcnt(0)
	s_and_b32 s27, s20, 0xffff
	s_and_saveexec_b64 s[20:21], vcc
	s_cbranch_execz .LBB5_10
; %bb.7:
	s_mul_i32 s4, s22, s15
	s_mul_hi_u32 s5, s22, s14
	s_add_i32 s4, s5, s4
	s_mul_i32 s5, s23, s14
	s_add_i32 s5, s4, s5
	s_mul_i32 s4, s22, s14
	s_lshl_b64 s[4:5], s[4:5], 2
	s_add_u32 s14, s18, s4
	s_addc_u32 s15, s19, s5
	s_mul_i32 s4, s0, s11
	s_mul_hi_u32 s5, s0, s10
	s_add_i32 s4, s5, s4
	s_mul_i32 s5, s1, s10
	s_add_i32 s5, s4, s5
	s_mul_i32 s4, s0, s10
	s_lshl_b64 s[4:5], s[4:5], 2
	s_add_u32 s28, s14, s4
	s_addc_u32 s29, s15, s5
	s_lshl_b64 s[4:5], s[10:11], 2
	s_add_u32 s14, s28, s4
	s_addc_u32 s15, s29, s5
	s_mul_i32 s3, s22, s3
	s_mul_hi_u32 s5, s22, s2
	s_add_i32 s3, s5, s3
	s_mul_i32 s5, s23, s2
	s_add_i32 s3, s3, s5
	s_mul_i32 s2, s22, s2
	s_lshl_b64 s[2:3], s[2:3], 2
	s_add_u32 s2, s24, s2
	s_mul_i32 s5, s0, s9
	s_mul_hi_u32 s9, s0, s8
	s_addc_u32 s3, s25, s3
	s_add_i32 s5, s9, s5
	s_mul_i32 s1, s1, s8
	s_add_i32 s5, s5, s1
	s_mul_i32 s0, s0, s8
	s_sub_u32 s0, s12, s0
	s_subb_u32 s1, s13, s5
	s_mul_i32 s5, s0, s11
	s_mul_hi_u32 s8, s0, s10
	s_add_i32 s5, s8, s5
	s_mul_i32 s1, s1, s10
	s_add_i32 s1, s5, s1
	s_mul_i32 s0, s0, s10
	s_lshl_b64 s[0:1], s[0:1], 2
	v_lshlrev_b32_e32 v2, 2, v0
	s_add_u32 s22, s2, s0
	s_mov_b32 s4, 0
	v_mov_b32_e32 v3, 0
	v_mov_b32_e32 v1, s29
	v_add_co_u32_e32 v4, vcc, s28, v2
	s_addc_u32 s0, s3, s1
	v_addc_co_u32_e32 v5, vcc, 0, v1, vcc
	s_lshl_b32 s23, s27, 2
	s_mov_b64 s[18:19], 0
	v_mov_b32_e32 v10, s0
	v_mov_b32_e32 v11, s29
	;; [unrolled: 1-line block ×3, first 2 shown]
	s_mov_b32 s24, 0x3f2aaaab
	v_mov_b32_e32 v13, 0x3ecccdef
	s_mov_b32 s25, 0x3f317218
	s_movk_i32 s29, 0x204
	s_mov_b32 s30, 0x7f800000
	s_mov_b32 s31, 0x42b17218
	v_mov_b32_e32 v14, 0x37000000
	s_mov_b32 s33, 0x3fb8aa3b
	s_mov_b32 s34, 0xc2ce8ed0
	v_mov_b32_e32 v15, 0x7f800000
	v_mov_b32_e32 v16, 0x7fc00000
	s_lshl_b32 s35, s27, 2
	v_mov_b32_e32 v17, s4
	v_mov_b32_e32 v1, v3
.LBB5_8:                                ; =>This Inner Loop Header: Depth=1
	v_add_co_u32_e32 v6, vcc, s22, v2
	v_addc_co_u32_e32 v7, vcc, v10, v3, vcc
	v_add_co_u32_e32 v8, vcc, s28, v2
	v_addc_co_u32_e32 v9, vcc, v11, v3, vcc
	global_load_dword v18, v[8:9], off
	global_load_dword v19, v[6:7], off
	v_mov_b32_e32 v24, 0x3e91f4c4
	v_add_co_u32_e32 v4, vcc, s35, v4
	v_addc_co_u32_e32 v5, vcc, 0, v5, vcc
	v_add_co_u32_e32 v2, vcc, s23, v2
	v_addc_co_u32_e32 v3, vcc, v3, v17, vcc
	v_cmp_le_u64_e32 vcc, s[14:15], v[4:5]
	s_waitcnt vmcnt(0)
	v_sub_f32_e32 v6, v18, v19
	v_cmp_eq_f32_e64 s[2:3], |v6|, 1.0
	v_cndmask_b32_e64 v28, v12, 1.0, s[2:3]
	v_cmp_neq_f32_e64 s[0:1], 0, v28
	v_cndmask_b32_e64 v29, 1.0, |v6|, s[0:1]
	v_frexp_mant_f32_e32 v8, v29
	v_cmp_gt_f32_e64 s[12:13], s24, v8
	v_cndmask_b32_e64 v9, 1.0, 2.0, s[12:13]
	v_cndmask_b32_e64 v30, |v12|, 1.0, s[2:3]
	v_mul_f32_e32 v8, v8, v9
	v_cvt_f64_f32_e32 v[6:7], v29
	v_cmp_neq_f32_e64 s[8:9], v28, v30
	v_cmp_gt_f32_e64 s[10:11], 1.0, v29
	v_add_f32_e32 v9, 1.0, v8
	v_cmp_gt_f32_e64 s[4:5], 0, v28
	v_cmp_eq_f32_e64 s[2:3], 0, v29
	v_frexp_exp_i32_f64_e32 v6, v[6:7]
	s_xor_b64 s[8:9], s[8:9], s[10:11]
	v_rcp_f32_e32 v19, v9
	v_cndmask_b32_e64 v7, v30, 0, s[8:9]
	s_xor_b64 s[4:5], s[4:5], s[2:3]
	v_subbrev_co_u32_e64 v6, s[8:9], 0, v6, s[12:13]
	v_cndmask_b32_e64 v31, v15, 0, s[4:5]
	v_cmp_eq_f32_e64 s[4:5], 1.0, v29
	v_cvt_f32_i32_e32 v6, v6
	v_cndmask_b32_e64 v32, v7, v29, s[4:5]
	v_add_f32_e32 v7, -1.0, v8
	v_mul_f32_e32 v25, v7, v19
	v_add_f32_e32 v18, -1.0, v9
	v_mul_f32_e32 v20, v9, v25
	v_sub_f32_e32 v21, v8, v18
	v_mul_f32_e32 v8, 0x3f317218, v6
	v_fma_f32 v22, v25, v9, -v20
	v_fma_f32 v18, v6, s25, -v8
	v_fmac_f32_e32 v22, v25, v21
	v_fmac_f32_e32 v18, 0xb102e308, v6
	v_add_f32_e32 v6, v20, v22
	v_sub_f32_e32 v21, v7, v6
	v_mov_b32_e32 v23, v6
	v_pk_add_f32 v[6:7], v[6:7], v[20:21] neg_lo:[0,1] neg_hi:[0,1]
	v_pk_add_f32 v[6:7], v[6:7], v[22:23] neg_lo:[0,1] neg_hi:[0,1]
	v_add_f32_e32 v6, v6, v7
	v_add_f32_e32 v6, v21, v6
	v_mul_f32_e32 v7, v19, v6
	v_add_f32_e32 v6, v25, v7
	v_sub_f32_e32 v9, v6, v25
	v_mul_f32_e32 v21, v6, v6
	v_sub_f32_e32 v9, v7, v9
	v_fma_f32 v7, v6, v6, -v21
	v_add_f32_e32 v20, v9, v9
	v_fmac_f32_e32 v7, v6, v20
	v_add_f32_e32 v20, v21, v7
	v_fmac_f32_e32 v24, 0x3e76c4e1, v20
	v_sub_f32_e32 v21, v20, v21
	v_fma_f32 v22, v20, v24, v13
	v_sub_f32_e32 v34, v7, v21
	v_mul_f32_e32 v7, v20, v22
	v_fma_f32 v21, v20, v22, -v7
	v_fmac_f32_e32 v21, v34, v22
	v_add_f32_e32 v22, v7, v21
	v_add_f32_e32 v23, 0x3f2aaaaa, v22
	v_sub_f32_e32 v7, v22, v7
	v_sub_f32_e32 v7, v21, v7
	v_add_f32_e32 v21, 0xbf2aaaaa, v23
	v_add_f32_e32 v7, 0x31739010, v7
	v_sub_f32_e32 v21, v22, v21
	v_pk_mul_f32 v[24:25], v[6:7], v[20:21]
	v_fma_f32 v22, v20, v6, -v24
	v_pk_add_f32 v[26:27], v[6:7], v[20:21]
	v_fmac_f32_e32 v22, v20, v9
	v_mov_b32_e32 v25, v27
	v_fmac_f32_e32 v22, v34, v6
	v_ldexp_f32 v19, v6, 1
	v_pk_add_f32 v[6:7], v[24:25], v[22:23]
	v_sub_f32_e32 v21, v23, v7
	v_mov_b32_e32 v20, v7
	v_ldexp_f32 v33, v9, 1
	v_sub_f32_e32 v9, v6, v24
	v_add_f32_e32 v23, v27, v21
	v_pk_mul_f32 v[20:21], v[6:7], v[20:21]
	v_sub_f32_e32 v9, v22, v9
	v_fma_f32 v22, v6, v7, -v20
	v_fmac_f32_e32 v22, v6, v23
	v_fmac_f32_e32 v22, v9, v7
	v_add_f32_e32 v9, v20, v22
	v_pk_add_f32 v[6:7], v[8:9], v[18:19]
	v_mov_b32_e32 v21, v19
	v_mov_b32_e32 v24, v9
	;; [unrolled: 1-line block ×4, first 2 shown]
	v_pk_add_f32 v[20:21], v[24:25], v[20:21] neg_lo:[0,1] neg_hi:[0,1]
	v_pk_add_f32 v[20:21], v[22:23], v[20:21] neg_lo:[0,1] neg_hi:[0,1]
	v_add_f32_e32 v9, v33, v20
	v_add_f32_e32 v9, v9, v21
	v_pk_add_f32 v[20:21], v[6:7], v[8:9] neg_lo:[0,1] neg_hi:[0,1]
	v_pk_add_f32 v[22:23], v[6:7], v[8:9]
	v_mov_b32_e32 v19, v6
	v_mov_b32_e32 v24, v20
	;; [unrolled: 1-line block ×3, first 2 shown]
	v_pk_add_f32 v[24:25], v[18:19], v[24:25]
	v_mov_b32_e32 v8, v25
	v_mov_b32_e32 v26, v7
	v_pk_add_f32 v[6:7], v[8:9], v[6:7] neg_lo:[0,1] neg_hi:[0,1]
	v_mov_b32_e32 v24, v23
	v_mov_b32_e32 v7, v6
	;; [unrolled: 1-line block ×3, first 2 shown]
	v_pk_add_f32 v[20:21], v[18:19], v[20:21] neg_lo:[0,1] neg_hi:[0,1]
	v_mov_b32_e32 v18, v9
	v_pk_add_f32 v[6:7], v[22:23], v[6:7] neg_lo:[0,1] neg_hi:[0,1]
	v_pk_add_f32 v[22:23], v[24:25], v[26:27] neg_lo:[0,1] neg_hi:[0,1]
	;; [unrolled: 1-line block ×3, first 2 shown]
	v_mov_b32_e32 v6, v20
	v_pk_add_f32 v[6:7], v[6:7], v[18:19]
	v_mov_b32_e32 v22, v7
	v_pk_add_f32 v[22:23], v[6:7], v[22:23]
	v_pk_add_f32 v[8:9], v[8:9], v[22:23]
	v_mov_b32_e32 v21, v25
	v_mov_b32_e32 v7, v8
	;; [unrolled: 1-line block ×3, first 2 shown]
	v_pk_add_f32 v[22:23], v[6:7], v[20:21] neg_lo:[0,1] neg_hi:[0,1]
	v_sub_f32_e32 v6, v6, v22
	v_pk_add_f32 v[18:19], v[18:19], v[22:23] neg_lo:[0,1] neg_hi:[0,1]
	v_sub_f32_e32 v6, v20, v6
	v_add_f32_e32 v6, v18, v6
	v_add_f32_e32 v6, v6, v19
	;; [unrolled: 1-line block ×3, first 2 shown]
	v_sub_f32_e32 v8, v7, v8
	v_mul_f32_e32 v9, v28, v7
	v_sub_f32_e32 v6, v6, v8
	v_fma_f32 v7, v28, v7, -v9
	v_fmac_f32_e32 v7, v28, v6
	v_add_f32_e32 v6, v9, v7
	v_cmp_class_f32_e64 s[4:5], v9, s29
	v_sub_f32_e32 v8, v6, v9
	v_cndmask_b32_e64 v6, v6, v9, s[4:5]
	v_cmp_eq_f32_e64 s[4:5], s31, v6
	v_sub_f32_e32 v7, v7, v8
	v_cndmask_b32_e64 v8, 0, v14, s[4:5]
	v_cmp_neq_f32_e64 s[4:5], |v6|, s30
	v_cndmask_b32_e64 v7, 0, v7, s[4:5]
	v_sub_f32_e32 v6, v6, v8
	v_add_f32_e32 v7, v8, v7
	v_mul_f32_e32 v8, 0x3fb8aa3b, v6
	v_fma_f32 v9, v6, s33, -v8
	v_rndne_f32_e32 v18, v8
	v_fmac_f32_e32 v9, 0x32a5705f, v6
	v_sub_f32_e32 v8, v8, v18
	v_add_f32_e32 v8, v8, v9
	v_cvt_i32_f32_e32 v18, v18
	v_exp_f32_e32 v8, v8
	v_cmp_ngt_f32_e64 s[4:5], s34, v6
	v_cmp_eq_f32_e64 s[0:1], s30, v29
	s_or_b64 s[0:1], s[0:1], s[2:3]
	v_ldexp_f32 v8, v8, v18
	v_cndmask_b32_e64 v8, 0, v8, s[4:5]
	v_cmp_nlt_f32_e64 s[4:5], s31, v6
	v_cndmask_b32_e64 v6, v15, v8, s[4:5]
	v_fma_f32 v7, v6, v7, v6
	v_cmp_class_f32_e64 s[4:5], v6, s29
	v_cndmask_b32_e64 v6, v7, v6, s[4:5]
	v_cmp_eq_f32_e64 s[4:5], s30, v30
	v_cndmask_b32_e64 v6, |v6|, v32, s[4:5]
	v_cndmask_b32_e64 v6, v6, v31, s[0:1]
	s_or_b64 s[18:19], vcc, s[18:19]
	v_cmp_o_f32_e32 vcc, v29, v28
	v_cndmask_b32_e32 v6, v16, v6, vcc
	v_add_f32_e32 v1, v1, v6
	s_andn2_b64 exec, exec, s[18:19]
	s_cbranch_execnz .LBB5_8
; %bb.9:
	s_or_b64 exec, exec, s[18:19]
.LBB5_10:
	s_or_b64 exec, exec, s[20:21]
	v_mbcnt_lo_u32_b32 v2, -1, 0
	v_mbcnt_hi_u32_b32 v7, -1, v2
	v_and_b32_e32 v9, 63, v7
	v_cmp_gt_u32_e32 vcc, 32, v9
	v_cndmask_b32_e64 v2, 0, 1, vcc
	v_lshlrev_b32_e32 v2, 5, v2
	v_add_lshl_u32 v2, v2, v7, 2
	ds_bpermute_b32 v3, v2, v1
	v_cmp_gt_u32_e32 vcc, 48, v9
	v_cndmask_b32_e64 v4, 0, 1, vcc
	v_lshlrev_b32_e32 v4, 4, v4
	v_cmp_gt_u32_e32 vcc, 56, v9
	s_waitcnt lgkmcnt(0)
	v_add_f32_e32 v1, v1, v3
	v_add_lshl_u32 v3, v4, v7, 2
	ds_bpermute_b32 v4, v3, v1
	v_cndmask_b32_e64 v5, 0, 1, vcc
	v_lshlrev_b32_e32 v5, 3, v5
	v_cmp_gt_u32_e32 vcc, 60, v9
	v_cndmask_b32_e64 v6, 0, 1, vcc
	s_waitcnt lgkmcnt(0)
	v_add_f32_e32 v1, v1, v4
	v_add_lshl_u32 v4, v5, v7, 2
	ds_bpermute_b32 v5, v4, v1
	v_lshlrev_b32_e32 v6, 2, v6
	v_cmp_gt_u32_e32 vcc, 62, v9
	v_cndmask_b32_e64 v8, 0, 1, vcc
	v_lshlrev_b32_e32 v8, 1, v8
	s_waitcnt lgkmcnt(0)
	v_add_f32_e32 v1, v1, v5
	v_add_lshl_u32 v5, v6, v7, 2
	ds_bpermute_b32 v6, v5, v1
	v_cmp_ne_u32_e32 vcc, 63, v9
	s_waitcnt lgkmcnt(0)
	s_barrier
	v_add_f32_e32 v1, v1, v6
	v_add_lshl_u32 v6, v8, v7, 2
	ds_bpermute_b32 v10, v6, v1
	v_addc_co_u32_e32 v7, vcc, 0, v7, vcc
	v_lshlrev_b32_e32 v7, 2, v7
	v_and_b32_e32 v8, 63, v0
	s_waitcnt lgkmcnt(0)
	v_add_f32_e32 v1, v1, v10
	ds_bpermute_b32 v9, v7, v1
	v_cmp_eq_u32_e32 vcc, 0, v8
	s_and_saveexec_b64 s[0:1], vcc
	s_cbranch_execz .LBB5_12
; %bb.11:
	s_waitcnt lgkmcnt(0)
	v_add_f32_e32 v1, v1, v9
	v_lshrrev_b32_e32 v9, 4, v0
	ds_write_b32 v9, v1
.LBB5_12:
	s_or_b64 exec, exec, s[0:1]
	s_lshr_b32 s0, s27, 6
	v_cmp_gt_u32_e32 vcc, s0, v0
	v_mov_b32_e32 v1, 0
	s_waitcnt lgkmcnt(0)
	s_barrier
	s_and_saveexec_b64 s[0:1], vcc
	s_cbranch_execnz .LBB5_16
; %bb.13:
	s_or_b64 exec, exec, s[0:1]
	v_cmp_gt_u32_e32 vcc, 64, v0
	s_and_saveexec_b64 s[0:1], vcc
	s_cbranch_execnz .LBB5_17
.LBB5_14:
	s_or_b64 exec, exec, s[0:1]
	v_cmp_eq_u32_e32 vcc, 0, v0
	s_and_saveexec_b64 s[0:1], vcc
	s_cbranch_execnz .LBB5_18
.LBB5_15:
	s_endpgm
.LBB5_16:
	v_lshlrev_b32_e32 v1, 2, v8
	ds_read_b32 v1, v1
	s_or_b64 exec, exec, s[0:1]
	v_cmp_gt_u32_e32 vcc, 64, v0
	s_and_saveexec_b64 s[0:1], vcc
	s_cbranch_execz .LBB5_14
.LBB5_17:
	s_waitcnt lgkmcnt(0)
	ds_bpermute_b32 v2, v2, v1
	s_waitcnt lgkmcnt(0)
	v_add_f32_e32 v1, v1, v2
	ds_bpermute_b32 v2, v3, v1
	s_waitcnt lgkmcnt(0)
	v_add_f32_e32 v1, v1, v2
	;; [unrolled: 3-line block ×6, first 2 shown]
	s_or_b64 exec, exec, s[0:1]
	v_cmp_eq_u32_e32 vcc, 0, v0
	s_and_saveexec_b64 s[0:1], vcc
	s_cbranch_execz .LBB5_15
.LBB5_18:
	v_div_scale_f32 v0, s[0:1], s26, s26, 1.0
	v_rcp_f32_e32 v2, v0
	v_div_scale_f32 v3, vcc, 1.0, s26, 1.0
	s_mov_b32 s2, 0x3f2aaaab
	v_fma_f32 v4, -v0, v2, 1.0
	v_fmac_f32_e32 v2, v4, v2
	v_mul_f32_e32 v4, v3, v2
	v_fma_f32 v5, -v0, v4, v3
	v_fmac_f32_e32 v4, v5, v2
	v_fma_f32 v0, -v0, v4, v3
	v_div_fmas_f32 v0, v0, v2, v4
	v_div_fixup_f32 v18, v0, s26, 1.0
	s_waitcnt lgkmcnt(0)
	v_cmp_eq_f32_e32 vcc, 1.0, v1
	v_cndmask_b32_e64 v19, v18, 1.0, vcc
	v_cmp_eq_f32_e64 s[0:1], 0, v19
	v_cndmask_b32_e64 v20, |v1|, 1.0, s[0:1]
	v_frexp_mant_f32_e32 v0, v20
	v_cmp_gt_f32_e64 s[2:3], s2, v0
	v_cndmask_b32_e64 v2, 1.0, 2.0, s[2:3]
	v_mul_f32_e32 v0, v0, v2
	v_add_f32_e32 v2, 1.0, v0
	v_rcp_f32_e32 v10, v2
	v_add_f32_e32 v3, -1.0, v2
	v_sub_f32_e32 v5, v0, v3
	v_add_f32_e32 v3, -1.0, v0
	v_mul_f32_e32 v0, v3, v10
	v_mul_f32_e32 v4, v2, v0
	v_fma_f32 v6, v0, v2, -v4
	v_fmac_f32_e32 v6, v0, v5
	v_add_f32_e32 v2, v4, v6
	v_sub_f32_e32 v5, v3, v2
	v_pk_add_f32 v[8:9], v[2:3], v[4:5] neg_lo:[0,1] neg_hi:[0,1]
	v_mov_b32_e32 v7, v2
	v_pk_add_f32 v[2:3], v[8:9], v[6:7] neg_lo:[0,1] neg_hi:[0,1]
	v_add_f32_e32 v2, v2, v3
	v_add_f32_e32 v2, v5, v2
	v_mul_f32_e32 v3, v10, v2
	v_add_f32_e32 v2, v0, v3
	v_sub_f32_e32 v0, v2, v0
	v_sub_f32_e32 v12, v3, v0
	v_mul_f32_e32 v0, v2, v2
	v_fma_f32 v3, v2, v2, -v0
	v_add_f32_e32 v4, v12, v12
	v_fmac_f32_e32 v3, v2, v4
	v_add_f32_e32 v4, v0, v3
	v_mov_b32_e32 v5, 0x3e91f4c4
	v_fmac_f32_e32 v5, 0x3e76c4e1, v4
	v_mov_b32_e32 v6, 0x3ecccdef
	v_fmac_f32_e32 v6, v4, v5
	v_sub_f32_e32 v0, v4, v0
	v_sub_f32_e32 v0, v3, v0
	v_mul_f32_e32 v3, v4, v6
	v_fma_f32 v5, v4, v6, -v3
	v_fmac_f32_e32 v5, v0, v6
	v_add_f32_e32 v6, v3, v5
	v_add_f32_e32 v7, 0x3f2aaaaa, v6
	v_sub_f32_e32 v3, v6, v3
	v_sub_f32_e32 v3, v5, v3
	v_add_f32_e32 v5, 0xbf2aaaaa, v7
	v_add_f32_e32 v3, 0x31739010, v3
	v_sub_f32_e32 v5, v6, v5
	v_pk_mul_f32 v[8:9], v[2:3], v[4:5]
	v_fma_f32 v6, v4, v2, -v8
	v_pk_add_f32 v[10:11], v[2:3], v[4:5]
	v_fmac_f32_e32 v6, v4, v12
	v_mov_b32_e32 v9, v11
	v_fmac_f32_e32 v6, v0, v2
	v_pk_add_f32 v[4:5], v[8:9], v[6:7]
	v_sub_f32_e32 v0, v4, v8
	v_sub_f32_e32 v3, v6, v0
	;; [unrolled: 1-line block ×3, first 2 shown]
	v_add_f32_e32 v9, v11, v0
	v_mov_b32_e32 v0, v5
	v_cvt_f64_f32_e32 v[10:11], v20
	v_pk_mul_f32 v[6:7], v[4:5], v[0:1]
	v_frexp_exp_i32_f64_e32 v0, v[10:11]
	v_subbrev_co_u32_e64 v0, s[2:3], 0, v0, s[2:3]
	v_cvt_f32_i32_e32 v0, v0
	v_fma_f32 v8, v4, v5, -v6
	v_fmac_f32_e32 v8, v4, v9
	s_mov_b32 s2, 0x3f317218
	v_mul_f32_e32 v4, 0x3f317218, v0
	v_fmac_f32_e32 v8, v3, v5
	v_fma_f32 v10, v0, s2, -v4
	v_fmac_f32_e32 v10, 0xb102e308, v0
	v_ldexp_f32 v11, v2, 1
	v_add_f32_e32 v5, v6, v8
	v_pk_add_f32 v[2:3], v[4:5], v[10:11]
	v_ldexp_f32 v0, v12, 1
	v_mov_b32_e32 v12, v5
	v_mov_b32_e32 v13, v3
	;; [unrolled: 1-line block ×3, first 2 shown]
	v_pk_add_f32 v[6:7], v[12:13], v[6:7] neg_lo:[0,1] neg_hi:[0,1]
	v_mov_b32_e32 v9, v5
	v_pk_add_f32 v[6:7], v[8:9], v[6:7] neg_lo:[0,1] neg_hi:[0,1]
	v_add_f32_e32 v0, v0, v6
	v_add_f32_e32 v5, v0, v7
	v_pk_add_f32 v[6:7], v[2:3], v[4:5] neg_lo:[0,1] neg_hi:[0,1]
	v_pk_add_f32 v[8:9], v[2:3], v[4:5]
	v_mov_b32_e32 v12, v6
	v_mov_b32_e32 v13, v9
	;; [unrolled: 1-line block ×3, first 2 shown]
	v_pk_add_f32 v[12:13], v[10:11], v[12:13]
	v_mov_b32_e32 v0, v13
	v_pk_add_f32 v[14:15], v[0:1], v[2:3] neg_lo:[0,1] neg_hi:[0,1]
	v_mov_b32_e32 v15, v14
	v_mov_b32_e32 v12, v9
	;; [unrolled: 1-line block ×4, first 2 shown]
	v_pk_add_f32 v[6:7], v[10:11], v[6:7] neg_lo:[0,1] neg_hi:[0,1]
	v_pk_add_f32 v[16:17], v[8:9], v[14:15] neg_lo:[0,1] neg_hi:[0,1]
	;; [unrolled: 1-line block ×3, first 2 shown]
	v_mov_b32_e32 v10, v5
	v_pk_add_f32 v[2:3], v[10:11], v[2:3] neg_lo:[0,1] neg_hi:[0,1]
	v_mov_b32_e32 v16, v6
	v_pk_add_f32 v[4:5], v[16:17], v[2:3]
	v_mov_b32_e32 v8, v5
	v_pk_add_f32 v[8:9], v[4:5], v[8:9]
	v_pk_add_f32 v[10:11], v[0:1], v[8:9]
	v_mov_b32_e32 v7, v13
	v_mov_b32_e32 v5, v10
	v_pk_add_f32 v[12:13], v[4:5], v[6:7] neg_lo:[0,1] neg_hi:[0,1]
	v_mov_b32_e32 v3, v8
	v_sub_f32_e32 v0, v4, v12
	v_pk_add_f32 v[2:3], v[2:3], v[12:13] neg_lo:[0,1] neg_hi:[0,1]
	v_sub_f32_e32 v0, v6, v0
	v_add_f32_e32 v0, v2, v0
	v_add_f32_e32 v0, v0, v3
	;; [unrolled: 1-line block ×3, first 2 shown]
	v_sub_f32_e32 v3, v2, v10
	v_sub_f32_e32 v0, v0, v3
	v_mul_f32_e32 v3, v19, v2
	v_fma_f32 v2, v19, v2, -v3
	v_fmac_f32_e32 v2, v19, v0
	s_movk_i32 s4, 0x204
	v_add_f32_e32 v0, v3, v2
	v_cmp_class_f32_e64 s[2:3], v3, s4
	v_sub_f32_e32 v4, v0, v3
	v_cndmask_b32_e64 v0, v0, v3, s[2:3]
	s_mov_b32 s8, 0x42b17218
	v_mov_b32_e32 v3, 0x37000000
	v_cmp_eq_f32_e64 s[2:3], s8, v0
	v_cndmask_b32_e64 v3, 0, v3, s[2:3]
	v_sub_f32_e32 v2, v2, v4
	v_sub_f32_e32 v4, v0, v3
	s_mov_b32 s2, 0x3fb8aa3b
	v_mul_f32_e32 v5, 0x3fb8aa3b, v4
	v_fma_f32 v6, v4, s2, -v5
	v_rndne_f32_e32 v7, v5
	v_fmac_f32_e32 v6, 0x32a5705f, v4
	v_sub_f32_e32 v5, v5, v7
	v_add_f32_e32 v5, v5, v6
	v_exp_f32_e32 v5, v5
	v_cvt_i32_f32_e32 v6, v7
	s_mov_b32 s5, 0x7f800000
	v_cmp_neq_f32_e64 s[2:3], |v0|, s5
	v_cndmask_b32_e64 v0, 0, v2, s[2:3]
	s_mov_b32 s2, 0xc2ce8ed0
	v_ldexp_f32 v2, v5, v6
	v_cmp_ngt_f32_e64 s[2:3], s2, v4
	v_add_f32_e32 v0, v3, v0
	v_cndmask_b32_e64 v2, 0, v2, s[2:3]
	v_mov_b32_e32 v3, 0x7f800000
	v_cmp_nlt_f32_e64 s[2:3], s8, v4
	v_cndmask_b32_e64 v2, v3, v2, s[2:3]
	v_fma_f32 v0, v2, v0, v2
	v_cmp_class_f32_e64 s[2:3], v2, s4
	v_cndmask_b32_e64 v0, v0, v2, s[2:3]
	v_trunc_f32_e32 v2, v19
	v_cndmask_b32_e64 v1, v1, 1.0, s[0:1]
	v_cmp_eq_f32_e64 s[0:1], v2, v19
	v_mul_f32_e32 v2, 0.5, v19
	v_trunc_f32_e32 v5, v2
	v_cmp_neq_f32_e64 s[2:3], v5, v2
	s_and_b64 s[2:3], s[0:1], s[2:3]
	v_cndmask_b32_e64 v2, 1.0, v1, s[2:3]
	s_brev_b32 s8, -2
	v_mov_b32_e32 v4, 0x7fc00000
	v_bfi_b32 v0, s8, v0, v2
	v_cndmask_b32_e64 v2, v4, v0, s[0:1]
	v_cmp_gt_f32_e64 s[0:1], 0, v1
	v_cndmask_b32_e64 v0, v0, v2, s[0:1]
	v_cndmask_b32_e64 v2, |v18|, 1.0, vcc
	v_cmp_neq_f32_e32 vcc, v19, v2
	v_cmp_gt_f32_e64 s[0:1], 1.0, v20
	s_xor_b64 s[0:1], vcc, s[0:1]
	v_cndmask_b32_e64 v5, v2, 0, s[0:1]
	v_cmp_eq_f32_e32 vcc, 1.0, v20
	v_cndmask_b32_e32 v5, v5, v20, vcc
	v_cmp_eq_f32_e32 vcc, s5, v2
	v_cndmask_b32_e32 v0, v0, v5, vcc
	v_cmp_eq_f32_e32 vcc, s5, v20
	v_cmp_eq_f32_e64 s[0:1], 0, v1
	v_cmp_gt_f32_e64 s[4:5], 0, v19
	s_xor_b64 s[4:5], s[4:5], s[0:1]
	v_cndmask_b32_e64 v2, v3, 0, s[4:5]
	v_cndmask_b32_e64 v3, 0, v1, s[2:3]
	v_bfi_b32 v2, s8, v2, v3
	s_or_b64 vcc, vcc, s[0:1]
	s_lshl_b64 s[0:1], s[6:7], 2
	v_cndmask_b32_e32 v0, v0, v2, vcc
	v_cmp_o_f32_e32 vcc, v1, v19
	s_add_u32 s0, s16, s0
	v_cndmask_b32_e32 v0, v4, v0, vcc
	s_addc_u32 s1, s17, s1
	v_mov_b32_e32 v1, 0
	global_store_dword v1, v0, s[0:1]
	s_endpgm
.LBB5_19:
                                        ; implicit-def: $sgpr22_sgpr23
	s_branch .LBB5_2
.LBB5_20:
                                        ; implicit-def: $sgpr0_sgpr1
	s_branch .LBB5_5
	.section	.rodata,"a",@progbits
	.p2align	6, 0x0
	.amdhsa_kernel _ZN2at6native12_GLOBAL__N_122cdist_kernel_cuda_implIfNS1_5distsIfE1pEEEvPT_PKS6_S9_S6_lllll
		.amdhsa_group_segment_fixed_size 1024
		.amdhsa_private_segment_fixed_size 0
		.amdhsa_kernarg_size 328
		.amdhsa_user_sgpr_count 6
		.amdhsa_user_sgpr_private_segment_buffer 1
		.amdhsa_user_sgpr_dispatch_ptr 0
		.amdhsa_user_sgpr_queue_ptr 0
		.amdhsa_user_sgpr_kernarg_segment_ptr 1
		.amdhsa_user_sgpr_dispatch_id 0
		.amdhsa_user_sgpr_flat_scratch_init 0
		.amdhsa_user_sgpr_kernarg_preload_length 0
		.amdhsa_user_sgpr_kernarg_preload_offset 0
		.amdhsa_user_sgpr_private_segment_size 0
		.amdhsa_uses_dynamic_stack 0
		.amdhsa_system_sgpr_private_segment_wavefront_offset 0
		.amdhsa_system_sgpr_workgroup_id_x 1
		.amdhsa_system_sgpr_workgroup_id_y 0
		.amdhsa_system_sgpr_workgroup_id_z 0
		.amdhsa_system_sgpr_workgroup_info 0
		.amdhsa_system_vgpr_workitem_id 0
		.amdhsa_next_free_vgpr 35
		.amdhsa_next_free_sgpr 36
		.amdhsa_accum_offset 36
		.amdhsa_reserve_vcc 1
		.amdhsa_reserve_flat_scratch 0
		.amdhsa_float_round_mode_32 0
		.amdhsa_float_round_mode_16_64 0
		.amdhsa_float_denorm_mode_32 3
		.amdhsa_float_denorm_mode_16_64 3
		.amdhsa_dx10_clamp 1
		.amdhsa_ieee_mode 1
		.amdhsa_fp16_overflow 0
		.amdhsa_tg_split 0
		.amdhsa_exception_fp_ieee_invalid_op 0
		.amdhsa_exception_fp_denorm_src 0
		.amdhsa_exception_fp_ieee_div_zero 0
		.amdhsa_exception_fp_ieee_overflow 0
		.amdhsa_exception_fp_ieee_underflow 0
		.amdhsa_exception_fp_ieee_inexact 0
		.amdhsa_exception_int_div_zero 0
	.end_amdhsa_kernel
	.section	.text._ZN2at6native12_GLOBAL__N_122cdist_kernel_cuda_implIfNS1_5distsIfE1pEEEvPT_PKS6_S9_S6_lllll,"axG",@progbits,_ZN2at6native12_GLOBAL__N_122cdist_kernel_cuda_implIfNS1_5distsIfE1pEEEvPT_PKS6_S9_S6_lllll,comdat
.Lfunc_end5:
	.size	_ZN2at6native12_GLOBAL__N_122cdist_kernel_cuda_implIfNS1_5distsIfE1pEEEvPT_PKS6_S9_S6_lllll, .Lfunc_end5-_ZN2at6native12_GLOBAL__N_122cdist_kernel_cuda_implIfNS1_5distsIfE1pEEEvPT_PKS6_S9_S6_lllll
                                        ; -- End function
	.section	.AMDGPU.csdata,"",@progbits
; Kernel info:
; codeLenInByte = 4480
; NumSgprs: 40
; NumVgprs: 35
; NumAgprs: 0
; TotalNumVgprs: 35
; ScratchSize: 0
; MemoryBound: 0
; FloatMode: 240
; IeeeMode: 1
; LDSByteSize: 1024 bytes/workgroup (compile time only)
; SGPRBlocks: 4
; VGPRBlocks: 4
; NumSGPRsForWavesPerEU: 40
; NumVGPRsForWavesPerEU: 35
; AccumOffset: 36
; Occupancy: 8
; WaveLimiterHint : 0
; COMPUTE_PGM_RSRC2:SCRATCH_EN: 0
; COMPUTE_PGM_RSRC2:USER_SGPR: 6
; COMPUTE_PGM_RSRC2:TRAP_HANDLER: 0
; COMPUTE_PGM_RSRC2:TGID_X_EN: 1
; COMPUTE_PGM_RSRC2:TGID_Y_EN: 0
; COMPUTE_PGM_RSRC2:TGID_Z_EN: 0
; COMPUTE_PGM_RSRC2:TIDIG_COMP_CNT: 0
; COMPUTE_PGM_RSRC3_GFX90A:ACCUM_OFFSET: 8
; COMPUTE_PGM_RSRC3_GFX90A:TG_SPLIT: 0
	.section	.text._ZN2at6native12_GLOBAL__N_122cdist_kernel_cuda_implIfNS1_5distsIfE4zeroEEEvPT_PKS6_S9_S6_lllll,"axG",@progbits,_ZN2at6native12_GLOBAL__N_122cdist_kernel_cuda_implIfNS1_5distsIfE4zeroEEEvPT_PKS6_S9_S6_lllll,comdat
	.globl	_ZN2at6native12_GLOBAL__N_122cdist_kernel_cuda_implIfNS1_5distsIfE4zeroEEEvPT_PKS6_S9_S6_lllll ; -- Begin function _ZN2at6native12_GLOBAL__N_122cdist_kernel_cuda_implIfNS1_5distsIfE4zeroEEEvPT_PKS6_S9_S6_lllll
	.p2align	8
	.type	_ZN2at6native12_GLOBAL__N_122cdist_kernel_cuda_implIfNS1_5distsIfE4zeroEEEvPT_PKS6_S9_S6_lllll,@function
_ZN2at6native12_GLOBAL__N_122cdist_kernel_cuda_implIfNS1_5distsIfE4zeroEEEvPT_PKS6_S9_S6_lllll: ; @_ZN2at6native12_GLOBAL__N_122cdist_kernel_cuda_implIfNS1_5distsIfE4zeroEEEvPT_PKS6_S9_S6_lllll
; %bb.0:
	s_load_dwordx8 s[8:15], s[4:5], 0x20
	s_load_dwordx2 s[16:17], s[4:5], 0x40
	s_mov_b32 s7, 0
	s_mov_b32 s0, s7
	s_waitcnt lgkmcnt(0)
	s_mov_b32 s1, s13
	s_cmp_lg_u64 s[0:1], 0
	s_cbranch_scc0 .LBB6_23
; %bb.1:
	s_ashr_i32 s2, s13, 31
	s_add_u32 s0, s12, s2
	s_mov_b32 s3, s2
	s_addc_u32 s1, s13, s2
	s_xor_b64 s[18:19], s[0:1], s[2:3]
	v_cvt_f32_u32_e32 v1, s18
	v_cvt_f32_u32_e32 v2, s19
	s_sub_u32 s0, 0, s18
	s_subb_u32 s1, 0, s19
	v_madmk_f32 v1, v2, 0x4f800000, v1
	v_rcp_f32_e32 v1, v1
	v_mul_f32_e32 v1, 0x5f7ffffc, v1
	v_mul_f32_e32 v2, 0x2f800000, v1
	v_trunc_f32_e32 v2, v2
	v_madmk_f32 v1, v2, 0xcf800000, v1
	v_cvt_u32_f32_e32 v2, v2
	v_cvt_u32_f32_e32 v1, v1
	v_readfirstlane_b32 s22, v2
	v_readfirstlane_b32 s23, v1
	s_mul_i32 s24, s0, s22
	s_mul_hi_u32 s26, s0, s23
	s_mul_i32 s25, s1, s23
	s_add_i32 s24, s26, s24
	s_add_i32 s24, s24, s25
	s_mul_i32 s27, s0, s23
	s_mul_hi_u32 s25, s23, s24
	s_mul_i32 s26, s23, s24
	s_mul_hi_u32 s23, s23, s27
	s_add_u32 s23, s23, s26
	s_addc_u32 s25, 0, s25
	s_mul_hi_u32 s28, s22, s27
	s_mul_i32 s27, s22, s27
	s_add_u32 s23, s23, s27
	s_mul_hi_u32 s26, s22, s24
	s_addc_u32 s23, s25, s28
	s_addc_u32 s25, s26, 0
	s_mul_i32 s24, s22, s24
	s_add_u32 s23, s23, s24
	s_addc_u32 s24, 0, s25
	v_add_co_u32_e32 v1, vcc, s23, v1
	s_cmp_lg_u64 vcc, 0
	s_addc_u32 s22, s22, s24
	v_readfirstlane_b32 s24, v1
	s_mul_i32 s23, s0, s22
	s_mul_hi_u32 s25, s0, s24
	s_add_i32 s23, s25, s23
	s_mul_i32 s1, s1, s24
	s_add_i32 s23, s23, s1
	s_mul_i32 s0, s0, s24
	s_mul_hi_u32 s25, s22, s0
	s_mul_i32 s26, s22, s0
	s_mul_i32 s28, s24, s23
	s_mul_hi_u32 s0, s24, s0
	s_mul_hi_u32 s27, s24, s23
	s_add_u32 s0, s0, s28
	s_addc_u32 s24, 0, s27
	s_add_u32 s0, s0, s26
	s_mul_hi_u32 s1, s22, s23
	s_addc_u32 s0, s24, s25
	s_addc_u32 s1, s1, 0
	s_mul_i32 s23, s22, s23
	s_add_u32 s0, s0, s23
	s_addc_u32 s1, 0, s1
	v_add_co_u32_e32 v1, vcc, s0, v1
	s_cmp_lg_u64 vcc, 0
	s_addc_u32 s0, s22, s1
	v_readfirstlane_b32 s22, v1
	s_mul_hi_u32 s1, s6, s0
	s_mul_i32 s0, s6, s0
	s_mul_hi_u32 s22, s6, s22
	s_add_u32 s0, s22, s0
	s_addc_u32 s1, 0, s1
	s_add_u32 s0, s0, 0
	s_addc_u32 s0, s1, 0
	s_addc_u32 s1, 0, 0
	s_add_u32 s22, s0, 0
	s_addc_u32 s23, 0, s1
	s_mul_i32 s0, s18, s23
	s_mul_hi_u32 s1, s18, s22
	s_add_i32 s0, s1, s0
	s_mul_i32 s1, s19, s22
	s_add_i32 s24, s0, s1
	s_mul_i32 s1, s18, s22
	v_mov_b32_e32 v1, s1
	s_sub_i32 s0, 0, s24
	v_sub_co_u32_e32 v1, vcc, s6, v1
	s_cmp_lg_u64 vcc, 0
	s_subb_u32 s25, s0, s19
	v_subrev_co_u32_e64 v2, s[0:1], s18, v1
	s_cmp_lg_u64 s[0:1], 0
	s_subb_u32 s0, s25, 0
	s_cmp_ge_u32 s0, s19
	v_readfirstlane_b32 s25, v2
	s_cselect_b32 s1, -1, 0
	s_cmp_ge_u32 s25, s18
	s_cselect_b32 s25, -1, 0
	s_cmp_eq_u32 s0, s19
	s_cselect_b32 s0, s25, s1
	s_add_u32 s1, s22, 1
	s_addc_u32 s25, s23, 0
	s_add_u32 s26, s22, 2
	s_addc_u32 s27, s23, 0
	s_cmp_lg_u32 s0, 0
	s_cselect_b32 s0, s26, s1
	s_cselect_b32 s1, s27, s25
	s_cmp_lg_u64 vcc, 0
	s_subb_u32 s24, 0, s24
	s_cmp_ge_u32 s24, s19
	v_readfirstlane_b32 s26, v1
	s_cselect_b32 s25, -1, 0
	s_cmp_ge_u32 s26, s18
	s_cselect_b32 s18, -1, 0
	s_cmp_eq_u32 s24, s19
	s_cselect_b32 s18, s18, s25
	s_cmp_lg_u32 s18, 0
	s_cselect_b32 s1, s1, s23
	s_cselect_b32 s0, s0, s22
	s_xor_b64 s[0:1], s[0:1], s[2:3]
	s_sub_u32 s18, s0, s2
	s_subb_u32 s19, s1, s2
	s_cbranch_execnz .LBB6_3
.LBB6_2:
	v_cvt_f32_u32_e32 v1, s12
	s_sub_i32 s0, 0, s12
	s_mov_b32 s19, 0
	v_rcp_iflag_f32_e32 v1, v1
	v_mul_f32_e32 v1, 0x4f7ffffe, v1
	v_cvt_u32_f32_e32 v1, v1
	v_readfirstlane_b32 s1, v1
	s_mul_i32 s0, s0, s1
	s_mul_hi_u32 s0, s1, s0
	s_add_i32 s1, s1, s0
	s_mul_hi_u32 s0, s6, s1
	s_mul_i32 s2, s0, s12
	s_sub_i32 s2, s6, s2
	s_add_i32 s1, s0, 1
	s_sub_i32 s3, s2, s12
	s_cmp_ge_u32 s2, s12
	s_cselect_b32 s0, s1, s0
	s_cselect_b32 s2, s3, s2
	s_add_i32 s1, s0, 1
	s_cmp_ge_u32 s2, s12
	s_cselect_b32 s18, s1, s0
.LBB6_3:
	s_mul_i32 s0, s18, s13
	s_mul_hi_u32 s1, s18, s12
	s_add_i32 s0, s1, s0
	s_mul_i32 s1, s19, s12
	s_add_i32 s0, s0, s1
	s_mul_i32 s1, s18, s12
	s_sub_u32 s12, s6, s1
	s_subb_u32 s13, 0, s0
	s_or_b64 s[0:1], s[12:13], s[8:9]
	s_mov_b32 s0, 0
	s_cmp_lg_u64 s[0:1], 0
	s_cbranch_scc0 .LBB6_24
; %bb.4:
	s_ashr_i32 s2, s9, 31
	s_add_u32 s0, s8, s2
	s_mov_b32 s3, s2
	s_addc_u32 s1, s9, s2
	s_xor_b64 s[22:23], s[0:1], s[2:3]
	v_cvt_f32_u32_e32 v1, s22
	v_cvt_f32_u32_e32 v2, s23
	s_sub_u32 s0, 0, s22
	s_subb_u32 s1, 0, s23
	v_madmk_f32 v1, v2, 0x4f800000, v1
	v_rcp_f32_e32 v1, v1
	v_mul_f32_e32 v1, 0x5f7ffffc, v1
	v_mul_f32_e32 v2, 0x2f800000, v1
	v_trunc_f32_e32 v2, v2
	v_madmk_f32 v1, v2, 0xcf800000, v1
	v_cvt_u32_f32_e32 v2, v2
	v_cvt_u32_f32_e32 v1, v1
	v_readfirstlane_b32 s24, v2
	v_readfirstlane_b32 s25, v1
	s_mul_i32 s26, s0, s24
	s_mul_hi_u32 s28, s0, s25
	s_mul_i32 s27, s1, s25
	s_add_i32 s26, s28, s26
	s_add_i32 s26, s26, s27
	s_mul_i32 s29, s0, s25
	s_mul_hi_u32 s27, s25, s26
	s_mul_i32 s28, s25, s26
	s_mul_hi_u32 s25, s25, s29
	s_add_u32 s25, s25, s28
	s_addc_u32 s27, 0, s27
	s_mul_hi_u32 s30, s24, s29
	s_mul_i32 s29, s24, s29
	s_add_u32 s25, s25, s29
	s_mul_hi_u32 s28, s24, s26
	s_addc_u32 s25, s27, s30
	s_addc_u32 s27, s28, 0
	s_mul_i32 s26, s24, s26
	s_add_u32 s25, s25, s26
	s_addc_u32 s26, 0, s27
	v_add_co_u32_e32 v1, vcc, s25, v1
	s_cmp_lg_u64 vcc, 0
	s_addc_u32 s24, s24, s26
	v_readfirstlane_b32 s26, v1
	s_mul_i32 s25, s0, s24
	s_mul_hi_u32 s27, s0, s26
	s_add_i32 s25, s27, s25
	s_mul_i32 s1, s1, s26
	s_add_i32 s25, s25, s1
	s_mul_i32 s0, s0, s26
	s_mul_hi_u32 s27, s24, s0
	s_mul_i32 s28, s24, s0
	s_mul_i32 s30, s26, s25
	s_mul_hi_u32 s0, s26, s0
	s_mul_hi_u32 s29, s26, s25
	s_add_u32 s0, s0, s30
	s_addc_u32 s26, 0, s29
	s_add_u32 s0, s0, s28
	s_mul_hi_u32 s1, s24, s25
	s_addc_u32 s0, s26, s27
	s_addc_u32 s1, s1, 0
	s_mul_i32 s25, s24, s25
	s_add_u32 s0, s0, s25
	s_addc_u32 s1, 0, s1
	v_add_co_u32_e32 v1, vcc, s0, v1
	s_cmp_lg_u64 vcc, 0
	s_addc_u32 s28, s24, s1
	s_ashr_i32 s24, s13, 31
	s_add_u32 s0, s12, s24
	s_mov_b32 s25, s24
	s_addc_u32 s1, s13, s24
	s_xor_b64 s[26:27], s[0:1], s[24:25]
	v_readfirstlane_b32 s29, v1
	s_mul_i32 s1, s26, s28
	s_mul_hi_u32 s30, s26, s29
	s_mul_hi_u32 s0, s26, s28
	s_add_u32 s1, s30, s1
	s_addc_u32 s0, 0, s0
	s_mul_hi_u32 s31, s27, s29
	s_mul_i32 s29, s27, s29
	s_add_u32 s1, s1, s29
	s_mul_hi_u32 s30, s27, s28
	s_addc_u32 s0, s0, s31
	s_addc_u32 s1, s30, 0
	s_mul_i32 s28, s27, s28
	s_add_u32 s28, s0, s28
	s_addc_u32 s29, 0, s1
	s_mul_i32 s0, s22, s29
	s_mul_hi_u32 s1, s22, s28
	s_add_i32 s0, s1, s0
	s_mul_i32 s1, s23, s28
	s_add_i32 s30, s0, s1
	s_mul_i32 s1, s22, s28
	v_mov_b32_e32 v1, s1
	s_sub_i32 s0, s27, s30
	v_sub_co_u32_e32 v1, vcc, s26, v1
	s_cmp_lg_u64 vcc, 0
	s_subb_u32 s26, s0, s23
	v_subrev_co_u32_e64 v2, s[0:1], s22, v1
	s_cmp_lg_u64 s[0:1], 0
	s_subb_u32 s0, s26, 0
	s_cmp_ge_u32 s0, s23
	v_readfirstlane_b32 s26, v2
	s_cselect_b32 s1, -1, 0
	s_cmp_ge_u32 s26, s22
	s_cselect_b32 s26, -1, 0
	s_cmp_eq_u32 s0, s23
	s_cselect_b32 s0, s26, s1
	s_add_u32 s1, s28, 1
	s_addc_u32 s26, s29, 0
	s_add_u32 s31, s28, 2
	s_addc_u32 s33, s29, 0
	s_cmp_lg_u32 s0, 0
	s_cselect_b32 s0, s31, s1
	s_cselect_b32 s1, s33, s26
	s_cmp_lg_u64 vcc, 0
	s_subb_u32 s26, s27, s30
	s_cmp_ge_u32 s26, s23
	v_readfirstlane_b32 s30, v1
	s_cselect_b32 s27, -1, 0
	s_cmp_ge_u32 s30, s22
	s_cselect_b32 s22, -1, 0
	s_cmp_eq_u32 s26, s23
	s_cselect_b32 s22, s22, s27
	s_cmp_lg_u32 s22, 0
	s_cselect_b32 s1, s1, s29
	s_cselect_b32 s0, s0, s28
	s_xor_b64 s[2:3], s[24:25], s[2:3]
	s_xor_b64 s[0:1], s[0:1], s[2:3]
	s_sub_u32 s22, s0, s2
	s_subb_u32 s23, s1, s3
	s_cbranch_execnz .LBB6_6
.LBB6_5:
	v_cvt_f32_u32_e32 v1, s8
	s_sub_i32 s0, 0, s8
	s_mov_b32 s23, 0
	v_rcp_iflag_f32_e32 v1, v1
	v_mul_f32_e32 v1, 0x4f7ffffe, v1
	v_cvt_u32_f32_e32 v1, v1
	v_readfirstlane_b32 s1, v1
	s_mul_i32 s0, s0, s1
	s_mul_hi_u32 s0, s1, s0
	s_add_i32 s1, s1, s0
	s_mul_hi_u32 s0, s12, s1
	s_mul_i32 s2, s0, s8
	s_sub_i32 s2, s12, s2
	s_add_i32 s1, s0, 1
	s_sub_i32 s3, s2, s8
	s_cmp_ge_u32 s2, s8
	s_cselect_b32 s0, s1, s0
	s_cselect_b32 s2, s3, s2
	s_add_i32 s1, s0, 1
	s_cmp_ge_u32 s2, s8
	s_cselect_b32 s22, s1, s0
.LBB6_6:
	s_load_dword s24, s[4:5], 0x54
	s_load_dwordx4 s[0:3], s[4:5], 0x0
	s_load_dwordx2 s[20:21], s[4:5], 0x10
	v_mov_b32_e32 v1, 0
	v_cmp_gt_i64_e32 vcc, s[10:11], v[0:1]
	s_waitcnt lgkmcnt(0)
	s_and_b32 s24, s24, 0xffff
	s_and_saveexec_b64 s[4:5], vcc
	s_cbranch_execz .LBB6_14
; %bb.7:
	s_mul_i32 s15, s18, s15
	s_mul_hi_u32 s25, s18, s14
	s_add_i32 s15, s25, s15
	s_mul_i32 s25, s19, s14
	s_add_i32 s15, s15, s25
	s_mul_i32 s14, s18, s14
	s_lshl_b64 s[14:15], s[14:15], 2
	s_add_u32 s14, s2, s14
	s_addc_u32 s15, s3, s15
	s_mul_i32 s2, s22, s11
	s_mul_hi_u32 s3, s22, s10
	s_add_i32 s2, s3, s2
	s_mul_i32 s3, s23, s10
	s_add_i32 s3, s2, s3
	s_mul_i32 s2, s22, s10
	s_lshl_b64 s[2:3], s[2:3], 2
	s_add_u32 s14, s14, s2
	s_addc_u32 s25, s15, s3
	s_lshl_b64 s[2:3], s[10:11], 2
	s_add_u32 s2, s14, s2
	s_mul_i32 s15, s18, s17
	s_mul_hi_u32 s17, s18, s16
	s_addc_u32 s3, s25, s3
	s_add_i32 s15, s17, s15
	s_mul_i32 s17, s19, s16
	s_add_i32 s17, s15, s17
	s_mul_i32 s16, s18, s16
	s_lshl_b64 s[16:17], s[16:17], 2
	s_add_u32 s15, s20, s16
	s_addc_u32 s16, s21, s17
	s_mul_i32 s9, s22, s9
	s_mul_hi_u32 s17, s22, s8
	s_add_i32 s9, s17, s9
	s_mul_i32 s17, s23, s8
	s_add_i32 s9, s9, s17
	s_mul_i32 s8, s22, s8
	s_sub_u32 s8, s12, s8
	s_subb_u32 s9, s13, s9
	s_mul_i32 s11, s8, s11
	s_mul_hi_u32 s12, s8, s10
	s_add_i32 s11, s12, s11
	s_mul_i32 s9, s9, s10
	s_add_i32 s9, s11, s9
	s_mul_i32 s8, s8, s10
	s_lshl_b64 s[8:9], s[8:9], 2
	v_lshlrev_b32_e32 v2, 2, v0
	s_add_u32 s15, s15, s8
	s_mov_b32 s26, 0
	v_mov_b32_e32 v3, 0
	v_mov_b32_e32 v1, s25
	v_add_co_u32_e32 v4, vcc, s14, v2
	s_addc_u32 s10, s16, s9
	v_addc_co_u32_e32 v5, vcc, 0, v1, vcc
	s_lshl_b32 s16, s24, 2
	s_mov_b64 s[8:9], 0
	v_mov_b32_e32 v6, s10
	v_mov_b32_e32 v7, s25
	s_lshl_b32 s17, s24, 2
	v_mov_b32_e32 v8, s26
	v_mov_b32_e32 v9, v3
	s_branch .LBB6_10
.LBB6_8:                                ;   in Loop: Header=BB6_10 Depth=1
	s_or_b64 exec, exec, s[12:13]
	v_mov_b32_e32 v1, v9
.LBB6_9:                                ;   in Loop: Header=BB6_10 Depth=1
	s_or_b64 exec, exec, s[10:11]
	v_add_co_u32_e32 v4, vcc, s17, v4
	v_addc_co_u32_e32 v5, vcc, 0, v5, vcc
	v_add_co_u32_e32 v2, vcc, s16, v2
	v_addc_co_u32_e32 v3, vcc, v3, v8, vcc
	v_cmp_le_u64_e32 vcc, s[2:3], v[4:5]
	s_or_b64 s[8:9], vcc, s[8:9]
	v_mov_b32_e32 v9, v1
	s_andn2_b64 exec, exec, s[8:9]
	s_cbranch_execz .LBB6_13
.LBB6_10:                               ; =>This Inner Loop Header: Depth=1
	v_add_co_u32_e32 v10, vcc, s15, v2
	v_addc_co_u32_e32 v11, vcc, v6, v3, vcc
	v_add_co_u32_e32 v12, vcc, s14, v2
	v_addc_co_u32_e32 v13, vcc, v7, v3, vcc
	global_load_dword v1, v[12:13], off
	global_load_dword v14, v[10:11], off
	s_waitcnt vmcnt(0)
	v_sub_f32_e32 v10, v1, v14
	v_and_b32_e32 v1, 0x7fffffff, v10
	v_cmp_o_f32_e32 vcc, v10, v10
	s_and_saveexec_b64 s[10:11], vcc
	s_cbranch_execz .LBB6_9
; %bb.11:                               ;   in Loop: Header=BB6_10 Depth=1
	v_cmp_neq_f32_e32 vcc, 0, v10
	s_and_saveexec_b64 s[12:13], vcc
	s_cbranch_execz .LBB6_8
; %bb.12:                               ;   in Loop: Header=BB6_10 Depth=1
	v_add_f32_e32 v9, 1.0, v9
	s_branch .LBB6_8
.LBB6_13:
	s_or_b64 exec, exec, s[8:9]
.LBB6_14:
	s_or_b64 exec, exec, s[4:5]
	v_mbcnt_lo_u32_b32 v2, -1, 0
	v_mbcnt_hi_u32_b32 v6, -1, v2
	v_and_b32_e32 v9, 63, v6
	v_cmp_gt_u32_e32 vcc, 32, v9
	v_cndmask_b32_e64 v2, 0, 1, vcc
	v_lshlrev_b32_e32 v2, 5, v2
	v_add_lshl_u32 v2, v2, v6, 2
	ds_bpermute_b32 v3, v2, v1
	v_cmp_gt_u32_e32 vcc, 48, v9
	v_cndmask_b32_e64 v4, 0, 1, vcc
	v_lshlrev_b32_e32 v4, 4, v4
	v_cmp_gt_u32_e32 vcc, 56, v9
	s_waitcnt lgkmcnt(0)
	v_add_f32_e32 v3, v1, v3
	v_add_lshl_u32 v1, v4, v6, 2
	ds_bpermute_b32 v4, v1, v3
	v_cndmask_b32_e64 v5, 0, 1, vcc
	v_lshlrev_b32_e32 v5, 3, v5
	v_cmp_gt_u32_e32 vcc, 60, v9
	v_cndmask_b32_e64 v7, 0, 1, vcc
	s_waitcnt lgkmcnt(0)
	v_add_f32_e32 v4, v3, v4
	v_add_lshl_u32 v3, v5, v6, 2
	ds_bpermute_b32 v5, v3, v4
	v_lshlrev_b32_e32 v7, 2, v7
	v_cmp_gt_u32_e32 vcc, 62, v9
	v_cndmask_b32_e64 v8, 0, 1, vcc
	v_lshlrev_b32_e32 v8, 1, v8
	s_waitcnt lgkmcnt(0)
	v_add_f32_e32 v5, v4, v5
	v_add_lshl_u32 v4, v7, v6, 2
	ds_bpermute_b32 v7, v4, v5
	v_cmp_ne_u32_e32 vcc, 63, v9
	s_waitcnt lgkmcnt(0)
	s_barrier
	v_add_f32_e32 v7, v5, v7
	v_add_lshl_u32 v5, v8, v6, 2
	ds_bpermute_b32 v10, v5, v7
	v_addc_co_u32_e32 v6, vcc, 0, v6, vcc
	v_lshlrev_b32_e32 v6, 2, v6
	v_and_b32_e32 v8, 63, v0
	s_waitcnt lgkmcnt(0)
	v_add_f32_e32 v7, v7, v10
	ds_bpermute_b32 v9, v6, v7
	v_cmp_eq_u32_e32 vcc, 0, v8
	s_and_saveexec_b64 s[2:3], vcc
	s_cbranch_execz .LBB6_16
; %bb.15:
	s_waitcnt lgkmcnt(0)
	v_add_f32_e32 v7, v7, v9
	v_lshrrev_b32_e32 v9, 4, v0
	ds_write_b32 v9, v7
.LBB6_16:
	s_or_b64 exec, exec, s[2:3]
	s_lshr_b32 s2, s24, 6
	v_cmp_gt_u32_e32 vcc, s2, v0
	v_mov_b32_e32 v7, 0
	s_waitcnt lgkmcnt(0)
	s_barrier
	s_and_saveexec_b64 s[2:3], vcc
	s_cbranch_execnz .LBB6_20
; %bb.17:
	s_or_b64 exec, exec, s[2:3]
	v_cmp_gt_u32_e32 vcc, 64, v0
	s_and_saveexec_b64 s[2:3], vcc
	s_cbranch_execnz .LBB6_21
.LBB6_18:
	s_or_b64 exec, exec, s[2:3]
	v_cmp_eq_u32_e32 vcc, 0, v0
	s_and_saveexec_b64 s[2:3], vcc
	s_cbranch_execnz .LBB6_22
.LBB6_19:
	s_endpgm
.LBB6_20:
	v_lshlrev_b32_e32 v7, 2, v8
	ds_read_b32 v7, v7
	s_or_b64 exec, exec, s[2:3]
	v_cmp_gt_u32_e32 vcc, 64, v0
	s_and_saveexec_b64 s[2:3], vcc
	s_cbranch_execz .LBB6_18
.LBB6_21:
	s_waitcnt lgkmcnt(0)
	ds_bpermute_b32 v2, v2, v7
	s_waitcnt lgkmcnt(0)
	v_add_f32_e32 v2, v7, v2
	ds_bpermute_b32 v1, v1, v2
	s_waitcnt lgkmcnt(0)
	v_add_f32_e32 v1, v2, v1
	;; [unrolled: 3-line block ×6, first 2 shown]
	s_or_b64 exec, exec, s[2:3]
	v_cmp_eq_u32_e32 vcc, 0, v0
	s_and_saveexec_b64 s[2:3], vcc
	s_cbranch_execz .LBB6_19
.LBB6_22:
	s_lshl_b64 s[2:3], s[6:7], 2
	s_add_u32 s0, s0, s2
	s_addc_u32 s1, s1, s3
	v_mov_b32_e32 v0, 0
	s_waitcnt lgkmcnt(0)
	global_store_dword v0, v7, s[0:1]
	s_endpgm
.LBB6_23:
                                        ; implicit-def: $sgpr18_sgpr19
	s_branch .LBB6_2
.LBB6_24:
                                        ; implicit-def: $sgpr22_sgpr23
	s_branch .LBB6_5
	.section	.rodata,"a",@progbits
	.p2align	6, 0x0
	.amdhsa_kernel _ZN2at6native12_GLOBAL__N_122cdist_kernel_cuda_implIfNS1_5distsIfE4zeroEEEvPT_PKS6_S9_S6_lllll
		.amdhsa_group_segment_fixed_size 1024
		.amdhsa_private_segment_fixed_size 0
		.amdhsa_kernarg_size 328
		.amdhsa_user_sgpr_count 6
		.amdhsa_user_sgpr_private_segment_buffer 1
		.amdhsa_user_sgpr_dispatch_ptr 0
		.amdhsa_user_sgpr_queue_ptr 0
		.amdhsa_user_sgpr_kernarg_segment_ptr 1
		.amdhsa_user_sgpr_dispatch_id 0
		.amdhsa_user_sgpr_flat_scratch_init 0
		.amdhsa_user_sgpr_kernarg_preload_length 0
		.amdhsa_user_sgpr_kernarg_preload_offset 0
		.amdhsa_user_sgpr_private_segment_size 0
		.amdhsa_uses_dynamic_stack 0
		.amdhsa_system_sgpr_private_segment_wavefront_offset 0
		.amdhsa_system_sgpr_workgroup_id_x 1
		.amdhsa_system_sgpr_workgroup_id_y 0
		.amdhsa_system_sgpr_workgroup_id_z 0
		.amdhsa_system_sgpr_workgroup_info 0
		.amdhsa_system_vgpr_workitem_id 0
		.amdhsa_next_free_vgpr 15
		.amdhsa_next_free_sgpr 34
		.amdhsa_accum_offset 16
		.amdhsa_reserve_vcc 1
		.amdhsa_reserve_flat_scratch 0
		.amdhsa_float_round_mode_32 0
		.amdhsa_float_round_mode_16_64 0
		.amdhsa_float_denorm_mode_32 3
		.amdhsa_float_denorm_mode_16_64 3
		.amdhsa_dx10_clamp 1
		.amdhsa_ieee_mode 1
		.amdhsa_fp16_overflow 0
		.amdhsa_tg_split 0
		.amdhsa_exception_fp_ieee_invalid_op 0
		.amdhsa_exception_fp_denorm_src 0
		.amdhsa_exception_fp_ieee_div_zero 0
		.amdhsa_exception_fp_ieee_overflow 0
		.amdhsa_exception_fp_ieee_underflow 0
		.amdhsa_exception_fp_ieee_inexact 0
		.amdhsa_exception_int_div_zero 0
	.end_amdhsa_kernel
	.section	.text._ZN2at6native12_GLOBAL__N_122cdist_kernel_cuda_implIfNS1_5distsIfE4zeroEEEvPT_PKS6_S9_S6_lllll,"axG",@progbits,_ZN2at6native12_GLOBAL__N_122cdist_kernel_cuda_implIfNS1_5distsIfE4zeroEEEvPT_PKS6_S9_S6_lllll,comdat
.Lfunc_end6:
	.size	_ZN2at6native12_GLOBAL__N_122cdist_kernel_cuda_implIfNS1_5distsIfE4zeroEEEvPT_PKS6_S9_S6_lllll, .Lfunc_end6-_ZN2at6native12_GLOBAL__N_122cdist_kernel_cuda_implIfNS1_5distsIfE4zeroEEEvPT_PKS6_S9_S6_lllll
                                        ; -- End function
	.section	.AMDGPU.csdata,"",@progbits
; Kernel info:
; codeLenInByte = 2292
; NumSgprs: 38
; NumVgprs: 15
; NumAgprs: 0
; TotalNumVgprs: 15
; ScratchSize: 0
; MemoryBound: 0
; FloatMode: 240
; IeeeMode: 1
; LDSByteSize: 1024 bytes/workgroup (compile time only)
; SGPRBlocks: 4
; VGPRBlocks: 1
; NumSGPRsForWavesPerEU: 38
; NumVGPRsForWavesPerEU: 15
; AccumOffset: 16
; Occupancy: 8
; WaveLimiterHint : 0
; COMPUTE_PGM_RSRC2:SCRATCH_EN: 0
; COMPUTE_PGM_RSRC2:USER_SGPR: 6
; COMPUTE_PGM_RSRC2:TRAP_HANDLER: 0
; COMPUTE_PGM_RSRC2:TGID_X_EN: 1
; COMPUTE_PGM_RSRC2:TGID_Y_EN: 0
; COMPUTE_PGM_RSRC2:TGID_Z_EN: 0
; COMPUTE_PGM_RSRC2:TIDIG_COMP_CNT: 0
; COMPUTE_PGM_RSRC3_GFX90A:ACCUM_OFFSET: 3
; COMPUTE_PGM_RSRC3_GFX90A:TG_SPLIT: 0
	.section	.text._ZN2at6native12_GLOBAL__N_122cdist_kernel_cuda_implIfNS1_5distsIfE3oneEEEvPT_PKS6_S9_S6_lllll,"axG",@progbits,_ZN2at6native12_GLOBAL__N_122cdist_kernel_cuda_implIfNS1_5distsIfE3oneEEEvPT_PKS6_S9_S6_lllll,comdat
	.globl	_ZN2at6native12_GLOBAL__N_122cdist_kernel_cuda_implIfNS1_5distsIfE3oneEEEvPT_PKS6_S9_S6_lllll ; -- Begin function _ZN2at6native12_GLOBAL__N_122cdist_kernel_cuda_implIfNS1_5distsIfE3oneEEEvPT_PKS6_S9_S6_lllll
	.p2align	8
	.type	_ZN2at6native12_GLOBAL__N_122cdist_kernel_cuda_implIfNS1_5distsIfE3oneEEEvPT_PKS6_S9_S6_lllll,@function
_ZN2at6native12_GLOBAL__N_122cdist_kernel_cuda_implIfNS1_5distsIfE3oneEEEvPT_PKS6_S9_S6_lllll: ; @_ZN2at6native12_GLOBAL__N_122cdist_kernel_cuda_implIfNS1_5distsIfE3oneEEEvPT_PKS6_S9_S6_lllll
; %bb.0:
	s_load_dwordx8 s[8:15], s[4:5], 0x20
	s_load_dwordx2 s[16:17], s[4:5], 0x40
	s_mov_b32 s7, 0
	s_mov_b32 s0, s7
	s_waitcnt lgkmcnt(0)
	s_mov_b32 s1, s13
	s_cmp_lg_u64 s[0:1], 0
	s_cbranch_scc0 .LBB7_19
; %bb.1:
	s_ashr_i32 s2, s13, 31
	s_add_u32 s0, s12, s2
	s_mov_b32 s3, s2
	s_addc_u32 s1, s13, s2
	s_xor_b64 s[18:19], s[0:1], s[2:3]
	v_cvt_f32_u32_e32 v1, s18
	v_cvt_f32_u32_e32 v2, s19
	s_sub_u32 s0, 0, s18
	s_subb_u32 s1, 0, s19
	v_madmk_f32 v1, v2, 0x4f800000, v1
	v_rcp_f32_e32 v1, v1
	v_mul_f32_e32 v1, 0x5f7ffffc, v1
	v_mul_f32_e32 v2, 0x2f800000, v1
	v_trunc_f32_e32 v2, v2
	v_madmk_f32 v1, v2, 0xcf800000, v1
	v_cvt_u32_f32_e32 v2, v2
	v_cvt_u32_f32_e32 v1, v1
	v_readfirstlane_b32 s22, v2
	v_readfirstlane_b32 s23, v1
	s_mul_i32 s24, s0, s22
	s_mul_hi_u32 s26, s0, s23
	s_mul_i32 s25, s1, s23
	s_add_i32 s24, s26, s24
	s_add_i32 s24, s24, s25
	s_mul_i32 s27, s0, s23
	s_mul_hi_u32 s25, s23, s24
	s_mul_i32 s26, s23, s24
	s_mul_hi_u32 s23, s23, s27
	s_add_u32 s23, s23, s26
	s_addc_u32 s25, 0, s25
	s_mul_hi_u32 s28, s22, s27
	s_mul_i32 s27, s22, s27
	s_add_u32 s23, s23, s27
	s_mul_hi_u32 s26, s22, s24
	s_addc_u32 s23, s25, s28
	s_addc_u32 s25, s26, 0
	s_mul_i32 s24, s22, s24
	s_add_u32 s23, s23, s24
	s_addc_u32 s24, 0, s25
	v_add_co_u32_e32 v1, vcc, s23, v1
	s_cmp_lg_u64 vcc, 0
	s_addc_u32 s22, s22, s24
	v_readfirstlane_b32 s24, v1
	s_mul_i32 s23, s0, s22
	s_mul_hi_u32 s25, s0, s24
	s_add_i32 s23, s25, s23
	s_mul_i32 s1, s1, s24
	s_add_i32 s23, s23, s1
	s_mul_i32 s0, s0, s24
	s_mul_hi_u32 s25, s22, s0
	s_mul_i32 s26, s22, s0
	s_mul_i32 s28, s24, s23
	s_mul_hi_u32 s0, s24, s0
	s_mul_hi_u32 s27, s24, s23
	s_add_u32 s0, s0, s28
	s_addc_u32 s24, 0, s27
	s_add_u32 s0, s0, s26
	s_mul_hi_u32 s1, s22, s23
	s_addc_u32 s0, s24, s25
	s_addc_u32 s1, s1, 0
	s_mul_i32 s23, s22, s23
	s_add_u32 s0, s0, s23
	s_addc_u32 s1, 0, s1
	v_add_co_u32_e32 v1, vcc, s0, v1
	s_cmp_lg_u64 vcc, 0
	s_addc_u32 s0, s22, s1
	v_readfirstlane_b32 s22, v1
	s_mul_hi_u32 s1, s6, s0
	s_mul_i32 s0, s6, s0
	s_mul_hi_u32 s22, s6, s22
	s_add_u32 s0, s22, s0
	s_addc_u32 s1, 0, s1
	s_add_u32 s0, s0, 0
	s_addc_u32 s0, s1, 0
	s_addc_u32 s1, 0, 0
	s_add_u32 s22, s0, 0
	s_addc_u32 s23, 0, s1
	s_mul_i32 s0, s18, s23
	s_mul_hi_u32 s1, s18, s22
	s_add_i32 s0, s1, s0
	s_mul_i32 s1, s19, s22
	s_add_i32 s24, s0, s1
	s_mul_i32 s1, s18, s22
	v_mov_b32_e32 v1, s1
	s_sub_i32 s0, 0, s24
	v_sub_co_u32_e32 v1, vcc, s6, v1
	s_cmp_lg_u64 vcc, 0
	s_subb_u32 s25, s0, s19
	v_subrev_co_u32_e64 v2, s[0:1], s18, v1
	s_cmp_lg_u64 s[0:1], 0
	s_subb_u32 s0, s25, 0
	s_cmp_ge_u32 s0, s19
	v_readfirstlane_b32 s25, v2
	s_cselect_b32 s1, -1, 0
	s_cmp_ge_u32 s25, s18
	s_cselect_b32 s25, -1, 0
	s_cmp_eq_u32 s0, s19
	s_cselect_b32 s0, s25, s1
	s_add_u32 s1, s22, 1
	s_addc_u32 s25, s23, 0
	s_add_u32 s26, s22, 2
	s_addc_u32 s27, s23, 0
	s_cmp_lg_u32 s0, 0
	s_cselect_b32 s0, s26, s1
	s_cselect_b32 s1, s27, s25
	s_cmp_lg_u64 vcc, 0
	s_subb_u32 s24, 0, s24
	s_cmp_ge_u32 s24, s19
	v_readfirstlane_b32 s26, v1
	s_cselect_b32 s25, -1, 0
	s_cmp_ge_u32 s26, s18
	s_cselect_b32 s18, -1, 0
	s_cmp_eq_u32 s24, s19
	s_cselect_b32 s18, s18, s25
	s_cmp_lg_u32 s18, 0
	s_cselect_b32 s1, s1, s23
	s_cselect_b32 s0, s0, s22
	s_xor_b64 s[0:1], s[0:1], s[2:3]
	s_sub_u32 s18, s0, s2
	s_subb_u32 s19, s1, s2
	s_cbranch_execnz .LBB7_3
.LBB7_2:
	v_cvt_f32_u32_e32 v1, s12
	s_sub_i32 s0, 0, s12
	s_mov_b32 s19, 0
	v_rcp_iflag_f32_e32 v1, v1
	v_mul_f32_e32 v1, 0x4f7ffffe, v1
	v_cvt_u32_f32_e32 v1, v1
	v_readfirstlane_b32 s1, v1
	s_mul_i32 s0, s0, s1
	s_mul_hi_u32 s0, s1, s0
	s_add_i32 s1, s1, s0
	s_mul_hi_u32 s0, s6, s1
	s_mul_i32 s2, s0, s12
	s_sub_i32 s2, s6, s2
	s_add_i32 s1, s0, 1
	s_sub_i32 s3, s2, s12
	s_cmp_ge_u32 s2, s12
	s_cselect_b32 s0, s1, s0
	s_cselect_b32 s2, s3, s2
	s_add_i32 s1, s0, 1
	s_cmp_ge_u32 s2, s12
	s_cselect_b32 s18, s1, s0
.LBB7_3:
	s_mul_i32 s0, s18, s13
	s_mul_hi_u32 s1, s18, s12
	s_add_i32 s0, s1, s0
	s_mul_i32 s1, s19, s12
	s_add_i32 s0, s0, s1
	s_mul_i32 s1, s18, s12
	s_sub_u32 s12, s6, s1
	s_subb_u32 s13, 0, s0
	s_or_b64 s[0:1], s[12:13], s[8:9]
	s_mov_b32 s0, 0
	s_cmp_lg_u64 s[0:1], 0
	s_cbranch_scc0 .LBB7_20
; %bb.4:
	s_ashr_i32 s2, s9, 31
	s_add_u32 s0, s8, s2
	s_mov_b32 s3, s2
	s_addc_u32 s1, s9, s2
	s_xor_b64 s[22:23], s[0:1], s[2:3]
	v_cvt_f32_u32_e32 v1, s22
	v_cvt_f32_u32_e32 v2, s23
	s_sub_u32 s0, 0, s22
	s_subb_u32 s1, 0, s23
	v_madmk_f32 v1, v2, 0x4f800000, v1
	v_rcp_f32_e32 v1, v1
	v_mul_f32_e32 v1, 0x5f7ffffc, v1
	v_mul_f32_e32 v2, 0x2f800000, v1
	v_trunc_f32_e32 v2, v2
	v_madmk_f32 v1, v2, 0xcf800000, v1
	v_cvt_u32_f32_e32 v2, v2
	v_cvt_u32_f32_e32 v1, v1
	v_readfirstlane_b32 s24, v2
	v_readfirstlane_b32 s25, v1
	s_mul_i32 s26, s0, s24
	s_mul_hi_u32 s28, s0, s25
	s_mul_i32 s27, s1, s25
	s_add_i32 s26, s28, s26
	s_add_i32 s26, s26, s27
	s_mul_i32 s29, s0, s25
	s_mul_hi_u32 s27, s25, s26
	s_mul_i32 s28, s25, s26
	s_mul_hi_u32 s25, s25, s29
	s_add_u32 s25, s25, s28
	s_addc_u32 s27, 0, s27
	s_mul_hi_u32 s30, s24, s29
	s_mul_i32 s29, s24, s29
	s_add_u32 s25, s25, s29
	s_mul_hi_u32 s28, s24, s26
	s_addc_u32 s25, s27, s30
	s_addc_u32 s27, s28, 0
	s_mul_i32 s26, s24, s26
	s_add_u32 s25, s25, s26
	s_addc_u32 s26, 0, s27
	v_add_co_u32_e32 v1, vcc, s25, v1
	s_cmp_lg_u64 vcc, 0
	s_addc_u32 s24, s24, s26
	v_readfirstlane_b32 s26, v1
	s_mul_i32 s25, s0, s24
	s_mul_hi_u32 s27, s0, s26
	s_add_i32 s25, s27, s25
	s_mul_i32 s1, s1, s26
	s_add_i32 s25, s25, s1
	s_mul_i32 s0, s0, s26
	s_mul_hi_u32 s27, s24, s0
	s_mul_i32 s28, s24, s0
	s_mul_i32 s30, s26, s25
	s_mul_hi_u32 s0, s26, s0
	s_mul_hi_u32 s29, s26, s25
	s_add_u32 s0, s0, s30
	s_addc_u32 s26, 0, s29
	s_add_u32 s0, s0, s28
	s_mul_hi_u32 s1, s24, s25
	s_addc_u32 s0, s26, s27
	s_addc_u32 s1, s1, 0
	s_mul_i32 s25, s24, s25
	s_add_u32 s0, s0, s25
	s_addc_u32 s1, 0, s1
	v_add_co_u32_e32 v1, vcc, s0, v1
	s_cmp_lg_u64 vcc, 0
	s_addc_u32 s28, s24, s1
	s_ashr_i32 s24, s13, 31
	s_add_u32 s0, s12, s24
	s_mov_b32 s25, s24
	s_addc_u32 s1, s13, s24
	s_xor_b64 s[26:27], s[0:1], s[24:25]
	v_readfirstlane_b32 s29, v1
	s_mul_i32 s1, s26, s28
	s_mul_hi_u32 s30, s26, s29
	s_mul_hi_u32 s0, s26, s28
	s_add_u32 s1, s30, s1
	s_addc_u32 s0, 0, s0
	s_mul_hi_u32 s31, s27, s29
	s_mul_i32 s29, s27, s29
	s_add_u32 s1, s1, s29
	s_mul_hi_u32 s30, s27, s28
	s_addc_u32 s0, s0, s31
	s_addc_u32 s1, s30, 0
	s_mul_i32 s28, s27, s28
	s_add_u32 s28, s0, s28
	s_addc_u32 s29, 0, s1
	s_mul_i32 s0, s22, s29
	s_mul_hi_u32 s1, s22, s28
	s_add_i32 s0, s1, s0
	s_mul_i32 s1, s23, s28
	s_add_i32 s30, s0, s1
	s_mul_i32 s1, s22, s28
	v_mov_b32_e32 v1, s1
	s_sub_i32 s0, s27, s30
	v_sub_co_u32_e32 v1, vcc, s26, v1
	s_cmp_lg_u64 vcc, 0
	s_subb_u32 s26, s0, s23
	v_subrev_co_u32_e64 v2, s[0:1], s22, v1
	s_cmp_lg_u64 s[0:1], 0
	s_subb_u32 s0, s26, 0
	s_cmp_ge_u32 s0, s23
	v_readfirstlane_b32 s26, v2
	s_cselect_b32 s1, -1, 0
	s_cmp_ge_u32 s26, s22
	s_cselect_b32 s26, -1, 0
	s_cmp_eq_u32 s0, s23
	s_cselect_b32 s0, s26, s1
	s_add_u32 s1, s28, 1
	s_addc_u32 s26, s29, 0
	s_add_u32 s31, s28, 2
	s_addc_u32 s33, s29, 0
	s_cmp_lg_u32 s0, 0
	s_cselect_b32 s0, s31, s1
	s_cselect_b32 s1, s33, s26
	s_cmp_lg_u64 vcc, 0
	s_subb_u32 s26, s27, s30
	s_cmp_ge_u32 s26, s23
	v_readfirstlane_b32 s30, v1
	s_cselect_b32 s27, -1, 0
	s_cmp_ge_u32 s30, s22
	s_cselect_b32 s22, -1, 0
	s_cmp_eq_u32 s26, s23
	s_cselect_b32 s22, s22, s27
	s_cmp_lg_u32 s22, 0
	s_cselect_b32 s1, s1, s29
	s_cselect_b32 s0, s0, s28
	s_xor_b64 s[2:3], s[24:25], s[2:3]
	s_xor_b64 s[0:1], s[0:1], s[2:3]
	s_sub_u32 s22, s0, s2
	s_subb_u32 s23, s1, s3
	s_cbranch_execnz .LBB7_6
.LBB7_5:
	v_cvt_f32_u32_e32 v1, s8
	s_sub_i32 s0, 0, s8
	s_mov_b32 s23, 0
	v_rcp_iflag_f32_e32 v1, v1
	v_mul_f32_e32 v1, 0x4f7ffffe, v1
	v_cvt_u32_f32_e32 v1, v1
	v_readfirstlane_b32 s1, v1
	s_mul_i32 s0, s0, s1
	s_mul_hi_u32 s0, s1, s0
	s_add_i32 s1, s1, s0
	s_mul_hi_u32 s0, s12, s1
	s_mul_i32 s2, s0, s8
	s_sub_i32 s2, s12, s2
	s_add_i32 s1, s0, 1
	s_sub_i32 s3, s2, s8
	s_cmp_ge_u32 s2, s8
	s_cselect_b32 s0, s1, s0
	s_cselect_b32 s2, s3, s2
	s_add_i32 s1, s0, 1
	s_cmp_ge_u32 s2, s8
	s_cselect_b32 s22, s1, s0
.LBB7_6:
	s_load_dword s24, s[4:5], 0x54
	s_load_dwordx4 s[0:3], s[4:5], 0x0
	s_load_dwordx2 s[20:21], s[4:5], 0x10
	v_mov_b32_e32 v1, 0
	v_cmp_gt_i64_e32 vcc, s[10:11], v[0:1]
	s_waitcnt lgkmcnt(0)
	s_and_b32 s24, s24, 0xffff
	s_and_saveexec_b64 s[4:5], vcc
	s_cbranch_execz .LBB7_10
; %bb.7:
	s_mul_i32 s15, s18, s15
	s_mul_hi_u32 s25, s18, s14
	s_add_i32 s15, s25, s15
	s_mul_i32 s25, s19, s14
	s_add_i32 s15, s15, s25
	s_mul_i32 s14, s18, s14
	s_lshl_b64 s[14:15], s[14:15], 2
	s_add_u32 s14, s2, s14
	s_addc_u32 s15, s3, s15
	s_mul_i32 s2, s22, s11
	s_mul_hi_u32 s3, s22, s10
	s_add_i32 s2, s3, s2
	s_mul_i32 s3, s23, s10
	s_add_i32 s3, s2, s3
	s_mul_i32 s2, s22, s10
	s_lshl_b64 s[2:3], s[2:3], 2
	s_add_u32 s14, s14, s2
	s_addc_u32 s15, s15, s3
	s_lshl_b64 s[2:3], s[10:11], 2
	s_add_u32 s2, s14, s2
	s_mul_i32 s17, s18, s17
	s_mul_hi_u32 s26, s18, s16
	s_addc_u32 s3, s15, s3
	s_add_i32 s17, s26, s17
	s_mul_i32 s19, s19, s16
	s_add_i32 s17, s17, s19
	s_mul_i32 s16, s18, s16
	s_lshl_b64 s[16:17], s[16:17], 2
	s_add_u32 s16, s20, s16
	s_mul_i32 s9, s22, s9
	s_mul_hi_u32 s18, s22, s8
	s_addc_u32 s17, s21, s17
	s_add_i32 s9, s18, s9
	s_mul_i32 s18, s23, s8
	s_add_i32 s9, s9, s18
	s_mul_i32 s8, s22, s8
	s_sub_u32 s8, s12, s8
	s_subb_u32 s9, s13, s9
	s_mul_i32 s11, s8, s11
	s_mul_hi_u32 s12, s8, s10
	s_add_i32 s11, s12, s11
	s_mul_i32 s9, s9, s10
	s_add_i32 s9, s11, s9
	s_mul_i32 s8, s8, s10
	s_lshl_b64 s[8:9], s[8:9], 2
	v_lshlrev_b32_e32 v2, 2, v0
	s_add_u32 s10, s16, s8
	s_mov_b32 s25, 0
	v_mov_b32_e32 v3, 0
	v_mov_b32_e32 v1, s15
	v_add_co_u32_e32 v4, vcc, s14, v2
	s_addc_u32 s12, s17, s9
	v_addc_co_u32_e32 v5, vcc, 0, v1, vcc
	s_lshl_b32 s11, s24, 2
	s_mov_b64 s[8:9], 0
	v_mov_b32_e32 v6, s12
	v_mov_b32_e32 v7, s15
	s_lshl_b32 s12, s24, 2
	v_mov_b32_e32 v8, s25
	v_mov_b32_e32 v1, v3
.LBB7_8:                                ; =>This Inner Loop Header: Depth=1
	v_add_co_u32_e32 v10, vcc, s10, v2
	v_addc_co_u32_e32 v11, vcc, v6, v3, vcc
	v_add_co_u32_e32 v12, vcc, s14, v2
	v_addc_co_u32_e32 v13, vcc, v7, v3, vcc
	global_load_dword v9, v[12:13], off
	global_load_dword v14, v[10:11], off
	v_add_co_u32_e32 v4, vcc, s12, v4
	v_addc_co_u32_e32 v5, vcc, 0, v5, vcc
	v_add_co_u32_e32 v2, vcc, s11, v2
	v_addc_co_u32_e32 v3, vcc, v3, v8, vcc
	v_cmp_le_u64_e32 vcc, s[2:3], v[4:5]
	s_or_b64 s[8:9], vcc, s[8:9]
	s_waitcnt vmcnt(0)
	v_sub_f32_e32 v9, v9, v14
	v_add_f32_e64 v1, v1, |v9|
	s_andn2_b64 exec, exec, s[8:9]
	s_cbranch_execnz .LBB7_8
; %bb.9:
	s_or_b64 exec, exec, s[8:9]
.LBB7_10:
	s_or_b64 exec, exec, s[4:5]
	v_mbcnt_lo_u32_b32 v2, -1, 0
	v_mbcnt_hi_u32_b32 v6, -1, v2
	v_and_b32_e32 v9, 63, v6
	v_cmp_gt_u32_e32 vcc, 32, v9
	v_cndmask_b32_e64 v2, 0, 1, vcc
	v_lshlrev_b32_e32 v2, 5, v2
	v_add_lshl_u32 v2, v2, v6, 2
	ds_bpermute_b32 v3, v2, v1
	v_cmp_gt_u32_e32 vcc, 48, v9
	v_cndmask_b32_e64 v4, 0, 1, vcc
	v_lshlrev_b32_e32 v4, 4, v4
	v_cmp_gt_u32_e32 vcc, 56, v9
	s_waitcnt lgkmcnt(0)
	v_add_f32_e32 v3, v1, v3
	v_add_lshl_u32 v1, v4, v6, 2
	ds_bpermute_b32 v4, v1, v3
	v_cndmask_b32_e64 v5, 0, 1, vcc
	v_lshlrev_b32_e32 v5, 3, v5
	v_cmp_gt_u32_e32 vcc, 60, v9
	v_cndmask_b32_e64 v7, 0, 1, vcc
	s_waitcnt lgkmcnt(0)
	v_add_f32_e32 v4, v3, v4
	v_add_lshl_u32 v3, v5, v6, 2
	ds_bpermute_b32 v5, v3, v4
	v_lshlrev_b32_e32 v7, 2, v7
	v_cmp_gt_u32_e32 vcc, 62, v9
	v_cndmask_b32_e64 v8, 0, 1, vcc
	v_lshlrev_b32_e32 v8, 1, v8
	s_waitcnt lgkmcnt(0)
	v_add_f32_e32 v5, v4, v5
	v_add_lshl_u32 v4, v7, v6, 2
	ds_bpermute_b32 v7, v4, v5
	v_cmp_ne_u32_e32 vcc, 63, v9
	s_waitcnt lgkmcnt(0)
	s_barrier
	v_add_f32_e32 v7, v5, v7
	v_add_lshl_u32 v5, v8, v6, 2
	ds_bpermute_b32 v10, v5, v7
	v_addc_co_u32_e32 v6, vcc, 0, v6, vcc
	v_lshlrev_b32_e32 v6, 2, v6
	v_and_b32_e32 v8, 63, v0
	s_waitcnt lgkmcnt(0)
	v_add_f32_e32 v7, v7, v10
	ds_bpermute_b32 v9, v6, v7
	v_cmp_eq_u32_e32 vcc, 0, v8
	s_and_saveexec_b64 s[2:3], vcc
	s_cbranch_execz .LBB7_12
; %bb.11:
	s_waitcnt lgkmcnt(0)
	v_add_f32_e32 v7, v7, v9
	v_lshrrev_b32_e32 v9, 4, v0
	ds_write_b32 v9, v7
.LBB7_12:
	s_or_b64 exec, exec, s[2:3]
	s_lshr_b32 s2, s24, 6
	v_cmp_gt_u32_e32 vcc, s2, v0
	v_mov_b32_e32 v7, 0
	s_waitcnt lgkmcnt(0)
	s_barrier
	s_and_saveexec_b64 s[2:3], vcc
	s_cbranch_execnz .LBB7_16
; %bb.13:
	s_or_b64 exec, exec, s[2:3]
	v_cmp_gt_u32_e32 vcc, 64, v0
	s_and_saveexec_b64 s[2:3], vcc
	s_cbranch_execnz .LBB7_17
.LBB7_14:
	s_or_b64 exec, exec, s[2:3]
	v_cmp_eq_u32_e32 vcc, 0, v0
	s_and_saveexec_b64 s[2:3], vcc
	s_cbranch_execnz .LBB7_18
.LBB7_15:
	s_endpgm
.LBB7_16:
	v_lshlrev_b32_e32 v7, 2, v8
	ds_read_b32 v7, v7
	s_or_b64 exec, exec, s[2:3]
	v_cmp_gt_u32_e32 vcc, 64, v0
	s_and_saveexec_b64 s[2:3], vcc
	s_cbranch_execz .LBB7_14
.LBB7_17:
	s_waitcnt lgkmcnt(0)
	ds_bpermute_b32 v2, v2, v7
	s_waitcnt lgkmcnt(0)
	v_add_f32_e32 v2, v7, v2
	ds_bpermute_b32 v1, v1, v2
	s_waitcnt lgkmcnt(0)
	v_add_f32_e32 v1, v2, v1
	;; [unrolled: 3-line block ×6, first 2 shown]
	s_or_b64 exec, exec, s[2:3]
	v_cmp_eq_u32_e32 vcc, 0, v0
	s_and_saveexec_b64 s[2:3], vcc
	s_cbranch_execz .LBB7_15
.LBB7_18:
	s_lshl_b64 s[2:3], s[6:7], 2
	s_add_u32 s0, s0, s2
	s_addc_u32 s1, s1, s3
	v_mov_b32_e32 v0, 0
	s_waitcnt lgkmcnt(0)
	global_store_dword v0, v7, s[0:1]
	s_endpgm
.LBB7_19:
                                        ; implicit-def: $sgpr18_sgpr19
	s_branch .LBB7_2
.LBB7_20:
                                        ; implicit-def: $sgpr22_sgpr23
	s_branch .LBB7_5
	.section	.rodata,"a",@progbits
	.p2align	6, 0x0
	.amdhsa_kernel _ZN2at6native12_GLOBAL__N_122cdist_kernel_cuda_implIfNS1_5distsIfE3oneEEEvPT_PKS6_S9_S6_lllll
		.amdhsa_group_segment_fixed_size 1024
		.amdhsa_private_segment_fixed_size 0
		.amdhsa_kernarg_size 328
		.amdhsa_user_sgpr_count 6
		.amdhsa_user_sgpr_private_segment_buffer 1
		.amdhsa_user_sgpr_dispatch_ptr 0
		.amdhsa_user_sgpr_queue_ptr 0
		.amdhsa_user_sgpr_kernarg_segment_ptr 1
		.amdhsa_user_sgpr_dispatch_id 0
		.amdhsa_user_sgpr_flat_scratch_init 0
		.amdhsa_user_sgpr_kernarg_preload_length 0
		.amdhsa_user_sgpr_kernarg_preload_offset 0
		.amdhsa_user_sgpr_private_segment_size 0
		.amdhsa_uses_dynamic_stack 0
		.amdhsa_system_sgpr_private_segment_wavefront_offset 0
		.amdhsa_system_sgpr_workgroup_id_x 1
		.amdhsa_system_sgpr_workgroup_id_y 0
		.amdhsa_system_sgpr_workgroup_id_z 0
		.amdhsa_system_sgpr_workgroup_info 0
		.amdhsa_system_vgpr_workitem_id 0
		.amdhsa_next_free_vgpr 15
		.amdhsa_next_free_sgpr 34
		.amdhsa_accum_offset 16
		.amdhsa_reserve_vcc 1
		.amdhsa_reserve_flat_scratch 0
		.amdhsa_float_round_mode_32 0
		.amdhsa_float_round_mode_16_64 0
		.amdhsa_float_denorm_mode_32 3
		.amdhsa_float_denorm_mode_16_64 3
		.amdhsa_dx10_clamp 1
		.amdhsa_ieee_mode 1
		.amdhsa_fp16_overflow 0
		.amdhsa_tg_split 0
		.amdhsa_exception_fp_ieee_invalid_op 0
		.amdhsa_exception_fp_denorm_src 0
		.amdhsa_exception_fp_ieee_div_zero 0
		.amdhsa_exception_fp_ieee_overflow 0
		.amdhsa_exception_fp_ieee_underflow 0
		.amdhsa_exception_fp_ieee_inexact 0
		.amdhsa_exception_int_div_zero 0
	.end_amdhsa_kernel
	.section	.text._ZN2at6native12_GLOBAL__N_122cdist_kernel_cuda_implIfNS1_5distsIfE3oneEEEvPT_PKS6_S9_S6_lllll,"axG",@progbits,_ZN2at6native12_GLOBAL__N_122cdist_kernel_cuda_implIfNS1_5distsIfE3oneEEEvPT_PKS6_S9_S6_lllll,comdat
.Lfunc_end7:
	.size	_ZN2at6native12_GLOBAL__N_122cdist_kernel_cuda_implIfNS1_5distsIfE3oneEEEvPT_PKS6_S9_S6_lllll, .Lfunc_end7-_ZN2at6native12_GLOBAL__N_122cdist_kernel_cuda_implIfNS1_5distsIfE3oneEEEvPT_PKS6_S9_S6_lllll
                                        ; -- End function
	.section	.AMDGPU.csdata,"",@progbits
; Kernel info:
; codeLenInByte = 2240
; NumSgprs: 38
; NumVgprs: 15
; NumAgprs: 0
; TotalNumVgprs: 15
; ScratchSize: 0
; MemoryBound: 0
; FloatMode: 240
; IeeeMode: 1
; LDSByteSize: 1024 bytes/workgroup (compile time only)
; SGPRBlocks: 4
; VGPRBlocks: 1
; NumSGPRsForWavesPerEU: 38
; NumVGPRsForWavesPerEU: 15
; AccumOffset: 16
; Occupancy: 8
; WaveLimiterHint : 0
; COMPUTE_PGM_RSRC2:SCRATCH_EN: 0
; COMPUTE_PGM_RSRC2:USER_SGPR: 6
; COMPUTE_PGM_RSRC2:TRAP_HANDLER: 0
; COMPUTE_PGM_RSRC2:TGID_X_EN: 1
; COMPUTE_PGM_RSRC2:TGID_Y_EN: 0
; COMPUTE_PGM_RSRC2:TGID_Z_EN: 0
; COMPUTE_PGM_RSRC2:TIDIG_COMP_CNT: 0
; COMPUTE_PGM_RSRC3_GFX90A:ACCUM_OFFSET: 3
; COMPUTE_PGM_RSRC3_GFX90A:TG_SPLIT: 0
	.section	.text._ZN2at6native12_GLOBAL__N_122cdist_kernel_cuda_implIfNS1_5distsIfE3twoEEEvPT_PKS6_S9_S6_lllll,"axG",@progbits,_ZN2at6native12_GLOBAL__N_122cdist_kernel_cuda_implIfNS1_5distsIfE3twoEEEvPT_PKS6_S9_S6_lllll,comdat
	.globl	_ZN2at6native12_GLOBAL__N_122cdist_kernel_cuda_implIfNS1_5distsIfE3twoEEEvPT_PKS6_S9_S6_lllll ; -- Begin function _ZN2at6native12_GLOBAL__N_122cdist_kernel_cuda_implIfNS1_5distsIfE3twoEEEvPT_PKS6_S9_S6_lllll
	.p2align	8
	.type	_ZN2at6native12_GLOBAL__N_122cdist_kernel_cuda_implIfNS1_5distsIfE3twoEEEvPT_PKS6_S9_S6_lllll,@function
_ZN2at6native12_GLOBAL__N_122cdist_kernel_cuda_implIfNS1_5distsIfE3twoEEEvPT_PKS6_S9_S6_lllll: ; @_ZN2at6native12_GLOBAL__N_122cdist_kernel_cuda_implIfNS1_5distsIfE3twoEEEvPT_PKS6_S9_S6_lllll
; %bb.0:
	s_load_dwordx8 s[8:15], s[4:5], 0x20
	s_load_dwordx2 s[16:17], s[4:5], 0x40
	s_mov_b32 s7, 0
	s_mov_b32 s0, s7
	s_waitcnt lgkmcnt(0)
	s_mov_b32 s1, s13
	s_cmp_lg_u64 s[0:1], 0
	s_cbranch_scc0 .LBB8_19
; %bb.1:
	s_ashr_i32 s2, s13, 31
	s_add_u32 s0, s12, s2
	s_mov_b32 s3, s2
	s_addc_u32 s1, s13, s2
	s_xor_b64 s[18:19], s[0:1], s[2:3]
	v_cvt_f32_u32_e32 v1, s18
	v_cvt_f32_u32_e32 v2, s19
	s_sub_u32 s0, 0, s18
	s_subb_u32 s1, 0, s19
	v_madmk_f32 v1, v2, 0x4f800000, v1
	v_rcp_f32_e32 v1, v1
	v_mul_f32_e32 v1, 0x5f7ffffc, v1
	v_mul_f32_e32 v2, 0x2f800000, v1
	v_trunc_f32_e32 v2, v2
	v_madmk_f32 v1, v2, 0xcf800000, v1
	v_cvt_u32_f32_e32 v2, v2
	v_cvt_u32_f32_e32 v1, v1
	v_readfirstlane_b32 s22, v2
	v_readfirstlane_b32 s23, v1
	s_mul_i32 s24, s0, s22
	s_mul_hi_u32 s26, s0, s23
	s_mul_i32 s25, s1, s23
	s_add_i32 s24, s26, s24
	s_add_i32 s24, s24, s25
	s_mul_i32 s27, s0, s23
	s_mul_hi_u32 s25, s23, s24
	s_mul_i32 s26, s23, s24
	s_mul_hi_u32 s23, s23, s27
	s_add_u32 s23, s23, s26
	s_addc_u32 s25, 0, s25
	s_mul_hi_u32 s28, s22, s27
	s_mul_i32 s27, s22, s27
	s_add_u32 s23, s23, s27
	s_mul_hi_u32 s26, s22, s24
	s_addc_u32 s23, s25, s28
	s_addc_u32 s25, s26, 0
	s_mul_i32 s24, s22, s24
	s_add_u32 s23, s23, s24
	s_addc_u32 s24, 0, s25
	v_add_co_u32_e32 v1, vcc, s23, v1
	s_cmp_lg_u64 vcc, 0
	s_addc_u32 s22, s22, s24
	v_readfirstlane_b32 s24, v1
	s_mul_i32 s23, s0, s22
	s_mul_hi_u32 s25, s0, s24
	s_add_i32 s23, s25, s23
	s_mul_i32 s1, s1, s24
	s_add_i32 s23, s23, s1
	s_mul_i32 s0, s0, s24
	s_mul_hi_u32 s25, s22, s0
	s_mul_i32 s26, s22, s0
	s_mul_i32 s28, s24, s23
	s_mul_hi_u32 s0, s24, s0
	s_mul_hi_u32 s27, s24, s23
	s_add_u32 s0, s0, s28
	s_addc_u32 s24, 0, s27
	s_add_u32 s0, s0, s26
	s_mul_hi_u32 s1, s22, s23
	s_addc_u32 s0, s24, s25
	s_addc_u32 s1, s1, 0
	s_mul_i32 s23, s22, s23
	s_add_u32 s0, s0, s23
	s_addc_u32 s1, 0, s1
	v_add_co_u32_e32 v1, vcc, s0, v1
	s_cmp_lg_u64 vcc, 0
	s_addc_u32 s0, s22, s1
	v_readfirstlane_b32 s22, v1
	s_mul_hi_u32 s1, s6, s0
	s_mul_i32 s0, s6, s0
	s_mul_hi_u32 s22, s6, s22
	s_add_u32 s0, s22, s0
	s_addc_u32 s1, 0, s1
	s_add_u32 s0, s0, 0
	s_addc_u32 s0, s1, 0
	s_addc_u32 s1, 0, 0
	s_add_u32 s22, s0, 0
	s_addc_u32 s23, 0, s1
	s_mul_i32 s0, s18, s23
	s_mul_hi_u32 s1, s18, s22
	s_add_i32 s0, s1, s0
	s_mul_i32 s1, s19, s22
	s_add_i32 s24, s0, s1
	s_mul_i32 s1, s18, s22
	v_mov_b32_e32 v1, s1
	s_sub_i32 s0, 0, s24
	v_sub_co_u32_e32 v1, vcc, s6, v1
	s_cmp_lg_u64 vcc, 0
	s_subb_u32 s25, s0, s19
	v_subrev_co_u32_e64 v2, s[0:1], s18, v1
	s_cmp_lg_u64 s[0:1], 0
	s_subb_u32 s0, s25, 0
	s_cmp_ge_u32 s0, s19
	v_readfirstlane_b32 s25, v2
	s_cselect_b32 s1, -1, 0
	s_cmp_ge_u32 s25, s18
	s_cselect_b32 s25, -1, 0
	s_cmp_eq_u32 s0, s19
	s_cselect_b32 s0, s25, s1
	s_add_u32 s1, s22, 1
	s_addc_u32 s25, s23, 0
	s_add_u32 s26, s22, 2
	s_addc_u32 s27, s23, 0
	s_cmp_lg_u32 s0, 0
	s_cselect_b32 s0, s26, s1
	s_cselect_b32 s1, s27, s25
	s_cmp_lg_u64 vcc, 0
	s_subb_u32 s24, 0, s24
	s_cmp_ge_u32 s24, s19
	v_readfirstlane_b32 s26, v1
	s_cselect_b32 s25, -1, 0
	s_cmp_ge_u32 s26, s18
	s_cselect_b32 s18, -1, 0
	s_cmp_eq_u32 s24, s19
	s_cselect_b32 s18, s18, s25
	s_cmp_lg_u32 s18, 0
	s_cselect_b32 s1, s1, s23
	s_cselect_b32 s0, s0, s22
	s_xor_b64 s[0:1], s[0:1], s[2:3]
	s_sub_u32 s18, s0, s2
	s_subb_u32 s19, s1, s2
	s_cbranch_execnz .LBB8_3
.LBB8_2:
	v_cvt_f32_u32_e32 v1, s12
	s_sub_i32 s0, 0, s12
	s_mov_b32 s19, 0
	v_rcp_iflag_f32_e32 v1, v1
	v_mul_f32_e32 v1, 0x4f7ffffe, v1
	v_cvt_u32_f32_e32 v1, v1
	v_readfirstlane_b32 s1, v1
	s_mul_i32 s0, s0, s1
	s_mul_hi_u32 s0, s1, s0
	s_add_i32 s1, s1, s0
	s_mul_hi_u32 s0, s6, s1
	s_mul_i32 s2, s0, s12
	s_sub_i32 s2, s6, s2
	s_add_i32 s1, s0, 1
	s_sub_i32 s3, s2, s12
	s_cmp_ge_u32 s2, s12
	s_cselect_b32 s0, s1, s0
	s_cselect_b32 s2, s3, s2
	s_add_i32 s1, s0, 1
	s_cmp_ge_u32 s2, s12
	s_cselect_b32 s18, s1, s0
.LBB8_3:
	s_mul_i32 s0, s18, s13
	s_mul_hi_u32 s1, s18, s12
	s_add_i32 s0, s1, s0
	s_mul_i32 s1, s19, s12
	s_add_i32 s0, s0, s1
	s_mul_i32 s1, s18, s12
	s_sub_u32 s12, s6, s1
	s_subb_u32 s13, 0, s0
	s_or_b64 s[0:1], s[12:13], s[8:9]
	s_mov_b32 s0, 0
	s_cmp_lg_u64 s[0:1], 0
	s_cbranch_scc0 .LBB8_20
; %bb.4:
	s_ashr_i32 s2, s9, 31
	s_add_u32 s0, s8, s2
	s_mov_b32 s3, s2
	s_addc_u32 s1, s9, s2
	s_xor_b64 s[22:23], s[0:1], s[2:3]
	v_cvt_f32_u32_e32 v1, s22
	v_cvt_f32_u32_e32 v2, s23
	s_sub_u32 s0, 0, s22
	s_subb_u32 s1, 0, s23
	v_madmk_f32 v1, v2, 0x4f800000, v1
	v_rcp_f32_e32 v1, v1
	v_mul_f32_e32 v1, 0x5f7ffffc, v1
	v_mul_f32_e32 v2, 0x2f800000, v1
	v_trunc_f32_e32 v2, v2
	v_madmk_f32 v1, v2, 0xcf800000, v1
	v_cvt_u32_f32_e32 v2, v2
	v_cvt_u32_f32_e32 v1, v1
	v_readfirstlane_b32 s24, v2
	v_readfirstlane_b32 s25, v1
	s_mul_i32 s26, s0, s24
	s_mul_hi_u32 s28, s0, s25
	s_mul_i32 s27, s1, s25
	s_add_i32 s26, s28, s26
	s_add_i32 s26, s26, s27
	s_mul_i32 s29, s0, s25
	s_mul_hi_u32 s27, s25, s26
	s_mul_i32 s28, s25, s26
	s_mul_hi_u32 s25, s25, s29
	s_add_u32 s25, s25, s28
	s_addc_u32 s27, 0, s27
	s_mul_hi_u32 s30, s24, s29
	s_mul_i32 s29, s24, s29
	s_add_u32 s25, s25, s29
	s_mul_hi_u32 s28, s24, s26
	s_addc_u32 s25, s27, s30
	s_addc_u32 s27, s28, 0
	s_mul_i32 s26, s24, s26
	s_add_u32 s25, s25, s26
	s_addc_u32 s26, 0, s27
	v_add_co_u32_e32 v1, vcc, s25, v1
	s_cmp_lg_u64 vcc, 0
	s_addc_u32 s24, s24, s26
	v_readfirstlane_b32 s26, v1
	s_mul_i32 s25, s0, s24
	s_mul_hi_u32 s27, s0, s26
	s_add_i32 s25, s27, s25
	s_mul_i32 s1, s1, s26
	s_add_i32 s25, s25, s1
	s_mul_i32 s0, s0, s26
	s_mul_hi_u32 s27, s24, s0
	s_mul_i32 s28, s24, s0
	s_mul_i32 s30, s26, s25
	s_mul_hi_u32 s0, s26, s0
	s_mul_hi_u32 s29, s26, s25
	s_add_u32 s0, s0, s30
	s_addc_u32 s26, 0, s29
	s_add_u32 s0, s0, s28
	s_mul_hi_u32 s1, s24, s25
	s_addc_u32 s0, s26, s27
	s_addc_u32 s1, s1, 0
	s_mul_i32 s25, s24, s25
	s_add_u32 s0, s0, s25
	s_addc_u32 s1, 0, s1
	v_add_co_u32_e32 v1, vcc, s0, v1
	s_cmp_lg_u64 vcc, 0
	s_addc_u32 s28, s24, s1
	s_ashr_i32 s24, s13, 31
	s_add_u32 s0, s12, s24
	s_mov_b32 s25, s24
	s_addc_u32 s1, s13, s24
	s_xor_b64 s[26:27], s[0:1], s[24:25]
	v_readfirstlane_b32 s29, v1
	s_mul_i32 s1, s26, s28
	s_mul_hi_u32 s30, s26, s29
	s_mul_hi_u32 s0, s26, s28
	s_add_u32 s1, s30, s1
	s_addc_u32 s0, 0, s0
	s_mul_hi_u32 s31, s27, s29
	s_mul_i32 s29, s27, s29
	s_add_u32 s1, s1, s29
	s_mul_hi_u32 s30, s27, s28
	s_addc_u32 s0, s0, s31
	s_addc_u32 s1, s30, 0
	s_mul_i32 s28, s27, s28
	s_add_u32 s28, s0, s28
	s_addc_u32 s29, 0, s1
	s_mul_i32 s0, s22, s29
	s_mul_hi_u32 s1, s22, s28
	s_add_i32 s0, s1, s0
	s_mul_i32 s1, s23, s28
	s_add_i32 s30, s0, s1
	s_mul_i32 s1, s22, s28
	v_mov_b32_e32 v1, s1
	s_sub_i32 s0, s27, s30
	v_sub_co_u32_e32 v1, vcc, s26, v1
	s_cmp_lg_u64 vcc, 0
	s_subb_u32 s26, s0, s23
	v_subrev_co_u32_e64 v2, s[0:1], s22, v1
	s_cmp_lg_u64 s[0:1], 0
	s_subb_u32 s0, s26, 0
	s_cmp_ge_u32 s0, s23
	v_readfirstlane_b32 s26, v2
	s_cselect_b32 s1, -1, 0
	s_cmp_ge_u32 s26, s22
	s_cselect_b32 s26, -1, 0
	s_cmp_eq_u32 s0, s23
	s_cselect_b32 s0, s26, s1
	s_add_u32 s1, s28, 1
	s_addc_u32 s26, s29, 0
	s_add_u32 s31, s28, 2
	s_addc_u32 s33, s29, 0
	s_cmp_lg_u32 s0, 0
	s_cselect_b32 s0, s31, s1
	s_cselect_b32 s1, s33, s26
	s_cmp_lg_u64 vcc, 0
	s_subb_u32 s26, s27, s30
	s_cmp_ge_u32 s26, s23
	v_readfirstlane_b32 s30, v1
	s_cselect_b32 s27, -1, 0
	s_cmp_ge_u32 s30, s22
	s_cselect_b32 s22, -1, 0
	s_cmp_eq_u32 s26, s23
	s_cselect_b32 s22, s22, s27
	s_cmp_lg_u32 s22, 0
	s_cselect_b32 s1, s1, s29
	s_cselect_b32 s0, s0, s28
	s_xor_b64 s[2:3], s[24:25], s[2:3]
	s_xor_b64 s[0:1], s[0:1], s[2:3]
	s_sub_u32 s22, s0, s2
	s_subb_u32 s23, s1, s3
	s_cbranch_execnz .LBB8_6
.LBB8_5:
	v_cvt_f32_u32_e32 v1, s8
	s_sub_i32 s0, 0, s8
	s_mov_b32 s23, 0
	v_rcp_iflag_f32_e32 v1, v1
	v_mul_f32_e32 v1, 0x4f7ffffe, v1
	v_cvt_u32_f32_e32 v1, v1
	v_readfirstlane_b32 s1, v1
	s_mul_i32 s0, s0, s1
	s_mul_hi_u32 s0, s1, s0
	s_add_i32 s1, s1, s0
	s_mul_hi_u32 s0, s12, s1
	s_mul_i32 s2, s0, s8
	s_sub_i32 s2, s12, s2
	s_add_i32 s1, s0, 1
	s_sub_i32 s3, s2, s8
	s_cmp_ge_u32 s2, s8
	s_cselect_b32 s0, s1, s0
	s_cselect_b32 s2, s3, s2
	s_add_i32 s1, s0, 1
	s_cmp_ge_u32 s2, s8
	s_cselect_b32 s22, s1, s0
.LBB8_6:
	s_load_dword s24, s[4:5], 0x54
	s_load_dwordx4 s[0:3], s[4:5], 0x0
	s_load_dwordx2 s[20:21], s[4:5], 0x10
	v_mov_b32_e32 v1, 0
	v_cmp_gt_i64_e32 vcc, s[10:11], v[0:1]
	s_waitcnt lgkmcnt(0)
	s_and_b32 s24, s24, 0xffff
	s_and_saveexec_b64 s[4:5], vcc
	s_cbranch_execz .LBB8_10
; %bb.7:
	s_mul_i32 s15, s18, s15
	s_mul_hi_u32 s25, s18, s14
	s_add_i32 s15, s25, s15
	s_mul_i32 s25, s19, s14
	s_add_i32 s15, s15, s25
	s_mul_i32 s14, s18, s14
	s_lshl_b64 s[14:15], s[14:15], 2
	s_add_u32 s14, s2, s14
	s_addc_u32 s15, s3, s15
	s_mul_i32 s2, s22, s11
	s_mul_hi_u32 s3, s22, s10
	s_add_i32 s2, s3, s2
	s_mul_i32 s3, s23, s10
	s_add_i32 s3, s2, s3
	s_mul_i32 s2, s22, s10
	s_lshl_b64 s[2:3], s[2:3], 2
	s_add_u32 s14, s14, s2
	s_addc_u32 s15, s15, s3
	s_lshl_b64 s[2:3], s[10:11], 2
	s_add_u32 s2, s14, s2
	s_mul_i32 s17, s18, s17
	s_mul_hi_u32 s26, s18, s16
	s_addc_u32 s3, s15, s3
	s_add_i32 s17, s26, s17
	s_mul_i32 s19, s19, s16
	s_add_i32 s17, s17, s19
	s_mul_i32 s16, s18, s16
	s_lshl_b64 s[16:17], s[16:17], 2
	s_add_u32 s16, s20, s16
	s_mul_i32 s9, s22, s9
	s_mul_hi_u32 s18, s22, s8
	s_addc_u32 s17, s21, s17
	s_add_i32 s9, s18, s9
	s_mul_i32 s18, s23, s8
	s_add_i32 s9, s9, s18
	s_mul_i32 s8, s22, s8
	s_sub_u32 s8, s12, s8
	s_subb_u32 s9, s13, s9
	s_mul_i32 s11, s8, s11
	s_mul_hi_u32 s12, s8, s10
	s_add_i32 s11, s12, s11
	s_mul_i32 s9, s9, s10
	s_add_i32 s9, s11, s9
	s_mul_i32 s8, s8, s10
	s_lshl_b64 s[8:9], s[8:9], 2
	v_lshlrev_b32_e32 v2, 2, v0
	s_add_u32 s10, s16, s8
	s_mov_b32 s25, 0
	v_mov_b32_e32 v3, 0
	v_mov_b32_e32 v1, s15
	v_add_co_u32_e32 v4, vcc, s14, v2
	s_addc_u32 s12, s17, s9
	v_addc_co_u32_e32 v5, vcc, 0, v1, vcc
	s_lshl_b32 s11, s24, 2
	s_mov_b64 s[8:9], 0
	v_mov_b32_e32 v6, s12
	v_mov_b32_e32 v7, s15
	s_lshl_b32 s12, s24, 2
	v_mov_b32_e32 v8, s25
	v_mov_b32_e32 v1, v3
.LBB8_8:                                ; =>This Inner Loop Header: Depth=1
	v_add_co_u32_e32 v10, vcc, s10, v2
	v_addc_co_u32_e32 v11, vcc, v6, v3, vcc
	v_add_co_u32_e32 v12, vcc, s14, v2
	v_addc_co_u32_e32 v13, vcc, v7, v3, vcc
	global_load_dword v9, v[12:13], off
	global_load_dword v14, v[10:11], off
	v_add_co_u32_e32 v4, vcc, s12, v4
	v_addc_co_u32_e32 v5, vcc, 0, v5, vcc
	v_add_co_u32_e32 v2, vcc, s11, v2
	v_addc_co_u32_e32 v3, vcc, v3, v8, vcc
	v_cmp_le_u64_e32 vcc, s[2:3], v[4:5]
	s_or_b64 s[8:9], vcc, s[8:9]
	s_waitcnt vmcnt(0)
	v_sub_f32_e32 v9, v9, v14
	v_fmac_f32_e32 v1, v9, v9
	s_andn2_b64 exec, exec, s[8:9]
	s_cbranch_execnz .LBB8_8
; %bb.9:
	s_or_b64 exec, exec, s[8:9]
.LBB8_10:
	s_or_b64 exec, exec, s[4:5]
	v_mbcnt_lo_u32_b32 v2, -1, 0
	v_mbcnt_hi_u32_b32 v6, -1, v2
	v_and_b32_e32 v9, 63, v6
	v_cmp_gt_u32_e32 vcc, 32, v9
	v_cndmask_b32_e64 v2, 0, 1, vcc
	v_lshlrev_b32_e32 v2, 5, v2
	v_add_lshl_u32 v2, v2, v6, 2
	ds_bpermute_b32 v3, v2, v1
	v_cmp_gt_u32_e32 vcc, 48, v9
	v_cndmask_b32_e64 v4, 0, 1, vcc
	v_lshlrev_b32_e32 v4, 4, v4
	v_cmp_gt_u32_e32 vcc, 56, v9
	s_waitcnt lgkmcnt(0)
	v_add_f32_e32 v3, v1, v3
	v_add_lshl_u32 v1, v4, v6, 2
	ds_bpermute_b32 v4, v1, v3
	v_cndmask_b32_e64 v5, 0, 1, vcc
	v_lshlrev_b32_e32 v5, 3, v5
	v_cmp_gt_u32_e32 vcc, 60, v9
	v_cndmask_b32_e64 v7, 0, 1, vcc
	s_waitcnt lgkmcnt(0)
	v_add_f32_e32 v4, v3, v4
	v_add_lshl_u32 v3, v5, v6, 2
	ds_bpermute_b32 v5, v3, v4
	v_lshlrev_b32_e32 v7, 2, v7
	v_cmp_gt_u32_e32 vcc, 62, v9
	v_cndmask_b32_e64 v8, 0, 1, vcc
	v_lshlrev_b32_e32 v8, 1, v8
	s_waitcnt lgkmcnt(0)
	v_add_f32_e32 v5, v4, v5
	v_add_lshl_u32 v4, v7, v6, 2
	ds_bpermute_b32 v7, v4, v5
	v_cmp_ne_u32_e32 vcc, 63, v9
	s_waitcnt lgkmcnt(0)
	s_barrier
	v_add_f32_e32 v7, v5, v7
	v_add_lshl_u32 v5, v8, v6, 2
	ds_bpermute_b32 v10, v5, v7
	v_addc_co_u32_e32 v6, vcc, 0, v6, vcc
	v_lshlrev_b32_e32 v6, 2, v6
	v_and_b32_e32 v8, 63, v0
	s_waitcnt lgkmcnt(0)
	v_add_f32_e32 v7, v7, v10
	ds_bpermute_b32 v9, v6, v7
	v_cmp_eq_u32_e32 vcc, 0, v8
	s_and_saveexec_b64 s[2:3], vcc
	s_cbranch_execz .LBB8_12
; %bb.11:
	s_waitcnt lgkmcnt(0)
	v_add_f32_e32 v7, v7, v9
	v_lshrrev_b32_e32 v9, 4, v0
	ds_write_b32 v9, v7
.LBB8_12:
	s_or_b64 exec, exec, s[2:3]
	s_lshr_b32 s2, s24, 6
	v_cmp_gt_u32_e32 vcc, s2, v0
	v_mov_b32_e32 v7, 0
	s_waitcnt lgkmcnt(0)
	s_barrier
	s_and_saveexec_b64 s[2:3], vcc
	s_cbranch_execnz .LBB8_16
; %bb.13:
	s_or_b64 exec, exec, s[2:3]
	v_cmp_gt_u32_e32 vcc, 64, v0
	s_and_saveexec_b64 s[2:3], vcc
	s_cbranch_execnz .LBB8_17
.LBB8_14:
	s_or_b64 exec, exec, s[2:3]
	v_cmp_eq_u32_e32 vcc, 0, v0
	s_and_saveexec_b64 s[2:3], vcc
	s_cbranch_execnz .LBB8_18
.LBB8_15:
	s_endpgm
.LBB8_16:
	v_lshlrev_b32_e32 v7, 2, v8
	ds_read_b32 v7, v7
	s_or_b64 exec, exec, s[2:3]
	v_cmp_gt_u32_e32 vcc, 64, v0
	s_and_saveexec_b64 s[2:3], vcc
	s_cbranch_execz .LBB8_14
.LBB8_17:
	s_waitcnt lgkmcnt(0)
	ds_bpermute_b32 v2, v2, v7
	s_waitcnt lgkmcnt(0)
	v_add_f32_e32 v2, v7, v2
	ds_bpermute_b32 v1, v1, v2
	s_waitcnt lgkmcnt(0)
	v_add_f32_e32 v1, v2, v1
	;; [unrolled: 3-line block ×6, first 2 shown]
	s_or_b64 exec, exec, s[2:3]
	v_cmp_eq_u32_e32 vcc, 0, v0
	s_and_saveexec_b64 s[2:3], vcc
	s_cbranch_execz .LBB8_15
.LBB8_18:
	s_mov_b32 s4, 0xf800000
	s_waitcnt lgkmcnt(0)
	v_mul_f32_e32 v0, 0x4f800000, v7
	v_cmp_gt_f32_e32 vcc, s4, v7
	v_cndmask_b32_e32 v0, v7, v0, vcc
	v_sqrt_f32_e32 v1, v0
	s_lshl_b64 s[2:3], s[6:7], 2
	s_add_u32 s2, s0, s2
	s_addc_u32 s3, s1, s3
	v_add_u32_e32 v3, -1, v1
	v_fma_f32 v4, -v3, v1, v0
	v_cmp_ge_f32_e64 s[0:1], 0, v4
	v_add_u32_e32 v4, 1, v1
	v_cndmask_b32_e64 v3, v1, v3, s[0:1]
	v_fma_f32 v1, -v4, v1, v0
	v_cmp_lt_f32_e64 s[0:1], 0, v1
	v_cndmask_b32_e64 v1, v3, v4, s[0:1]
	v_mul_f32_e32 v3, 0x37800000, v1
	v_cndmask_b32_e32 v1, v1, v3, vcc
	v_mov_b32_e32 v3, 0x260
	v_cmp_class_f32_e32 vcc, v0, v3
	v_mov_b32_e32 v2, 0
	v_cndmask_b32_e32 v0, v1, v0, vcc
	global_store_dword v2, v0, s[2:3]
	s_endpgm
.LBB8_19:
                                        ; implicit-def: $sgpr18_sgpr19
	s_branch .LBB8_2
.LBB8_20:
                                        ; implicit-def: $sgpr22_sgpr23
	s_branch .LBB8_5
	.section	.rodata,"a",@progbits
	.p2align	6, 0x0
	.amdhsa_kernel _ZN2at6native12_GLOBAL__N_122cdist_kernel_cuda_implIfNS1_5distsIfE3twoEEEvPT_PKS6_S9_S6_lllll
		.amdhsa_group_segment_fixed_size 1024
		.amdhsa_private_segment_fixed_size 0
		.amdhsa_kernarg_size 328
		.amdhsa_user_sgpr_count 6
		.amdhsa_user_sgpr_private_segment_buffer 1
		.amdhsa_user_sgpr_dispatch_ptr 0
		.amdhsa_user_sgpr_queue_ptr 0
		.amdhsa_user_sgpr_kernarg_segment_ptr 1
		.amdhsa_user_sgpr_dispatch_id 0
		.amdhsa_user_sgpr_flat_scratch_init 0
		.amdhsa_user_sgpr_kernarg_preload_length 0
		.amdhsa_user_sgpr_kernarg_preload_offset 0
		.amdhsa_user_sgpr_private_segment_size 0
		.amdhsa_uses_dynamic_stack 0
		.amdhsa_system_sgpr_private_segment_wavefront_offset 0
		.amdhsa_system_sgpr_workgroup_id_x 1
		.amdhsa_system_sgpr_workgroup_id_y 0
		.amdhsa_system_sgpr_workgroup_id_z 0
		.amdhsa_system_sgpr_workgroup_info 0
		.amdhsa_system_vgpr_workitem_id 0
		.amdhsa_next_free_vgpr 15
		.amdhsa_next_free_sgpr 34
		.amdhsa_accum_offset 16
		.amdhsa_reserve_vcc 1
		.amdhsa_reserve_flat_scratch 0
		.amdhsa_float_round_mode_32 0
		.amdhsa_float_round_mode_16_64 0
		.amdhsa_float_denorm_mode_32 3
		.amdhsa_float_denorm_mode_16_64 3
		.amdhsa_dx10_clamp 1
		.amdhsa_ieee_mode 1
		.amdhsa_fp16_overflow 0
		.amdhsa_tg_split 0
		.amdhsa_exception_fp_ieee_invalid_op 0
		.amdhsa_exception_fp_denorm_src 0
		.amdhsa_exception_fp_ieee_div_zero 0
		.amdhsa_exception_fp_ieee_overflow 0
		.amdhsa_exception_fp_ieee_underflow 0
		.amdhsa_exception_fp_ieee_inexact 0
		.amdhsa_exception_int_div_zero 0
	.end_amdhsa_kernel
	.section	.text._ZN2at6native12_GLOBAL__N_122cdist_kernel_cuda_implIfNS1_5distsIfE3twoEEEvPT_PKS6_S9_S6_lllll,"axG",@progbits,_ZN2at6native12_GLOBAL__N_122cdist_kernel_cuda_implIfNS1_5distsIfE3twoEEEvPT_PKS6_S9_S6_lllll,comdat
.Lfunc_end8:
	.size	_ZN2at6native12_GLOBAL__N_122cdist_kernel_cuda_implIfNS1_5distsIfE3twoEEEvPT_PKS6_S9_S6_lllll, .Lfunc_end8-_ZN2at6native12_GLOBAL__N_122cdist_kernel_cuda_implIfNS1_5distsIfE3twoEEEvPT_PKS6_S9_S6_lllll
                                        ; -- End function
	.section	.AMDGPU.csdata,"",@progbits
; Kernel info:
; codeLenInByte = 2348
; NumSgprs: 38
; NumVgprs: 15
; NumAgprs: 0
; TotalNumVgprs: 15
; ScratchSize: 0
; MemoryBound: 0
; FloatMode: 240
; IeeeMode: 1
; LDSByteSize: 1024 bytes/workgroup (compile time only)
; SGPRBlocks: 4
; VGPRBlocks: 1
; NumSGPRsForWavesPerEU: 38
; NumVGPRsForWavesPerEU: 15
; AccumOffset: 16
; Occupancy: 8
; WaveLimiterHint : 0
; COMPUTE_PGM_RSRC2:SCRATCH_EN: 0
; COMPUTE_PGM_RSRC2:USER_SGPR: 6
; COMPUTE_PGM_RSRC2:TRAP_HANDLER: 0
; COMPUTE_PGM_RSRC2:TGID_X_EN: 1
; COMPUTE_PGM_RSRC2:TGID_Y_EN: 0
; COMPUTE_PGM_RSRC2:TGID_Z_EN: 0
; COMPUTE_PGM_RSRC2:TIDIG_COMP_CNT: 0
; COMPUTE_PGM_RSRC3_GFX90A:ACCUM_OFFSET: 3
; COMPUTE_PGM_RSRC3_GFX90A:TG_SPLIT: 0
	.section	.text._ZN2at6native12_GLOBAL__N_122cdist_kernel_cuda_implIfNS1_5distsIfE3infEEEvPT_PKS6_S9_S6_lllll,"axG",@progbits,_ZN2at6native12_GLOBAL__N_122cdist_kernel_cuda_implIfNS1_5distsIfE3infEEEvPT_PKS6_S9_S6_lllll,comdat
	.globl	_ZN2at6native12_GLOBAL__N_122cdist_kernel_cuda_implIfNS1_5distsIfE3infEEEvPT_PKS6_S9_S6_lllll ; -- Begin function _ZN2at6native12_GLOBAL__N_122cdist_kernel_cuda_implIfNS1_5distsIfE3infEEEvPT_PKS6_S9_S6_lllll
	.p2align	8
	.type	_ZN2at6native12_GLOBAL__N_122cdist_kernel_cuda_implIfNS1_5distsIfE3infEEEvPT_PKS6_S9_S6_lllll,@function
_ZN2at6native12_GLOBAL__N_122cdist_kernel_cuda_implIfNS1_5distsIfE3infEEEvPT_PKS6_S9_S6_lllll: ; @_ZN2at6native12_GLOBAL__N_122cdist_kernel_cuda_implIfNS1_5distsIfE3infEEEvPT_PKS6_S9_S6_lllll
; %bb.0:
	s_load_dwordx8 s[8:15], s[4:5], 0x20
	s_load_dwordx2 s[16:17], s[4:5], 0x40
	s_mov_b32 s7, 0
	s_mov_b32 s0, s7
	s_waitcnt lgkmcnt(0)
	s_mov_b32 s1, s13
	s_cmp_lg_u64 s[0:1], 0
	s_cbranch_scc0 .LBB9_19
; %bb.1:
	s_ashr_i32 s2, s13, 31
	s_add_u32 s0, s12, s2
	s_mov_b32 s3, s2
	s_addc_u32 s1, s13, s2
	s_xor_b64 s[18:19], s[0:1], s[2:3]
	v_cvt_f32_u32_e32 v1, s18
	v_cvt_f32_u32_e32 v2, s19
	s_sub_u32 s0, 0, s18
	s_subb_u32 s1, 0, s19
	v_madmk_f32 v1, v2, 0x4f800000, v1
	v_rcp_f32_e32 v1, v1
	v_mul_f32_e32 v1, 0x5f7ffffc, v1
	v_mul_f32_e32 v2, 0x2f800000, v1
	v_trunc_f32_e32 v2, v2
	v_madmk_f32 v1, v2, 0xcf800000, v1
	v_cvt_u32_f32_e32 v2, v2
	v_cvt_u32_f32_e32 v1, v1
	v_readfirstlane_b32 s22, v2
	v_readfirstlane_b32 s23, v1
	s_mul_i32 s24, s0, s22
	s_mul_hi_u32 s26, s0, s23
	s_mul_i32 s25, s1, s23
	s_add_i32 s24, s26, s24
	s_add_i32 s24, s24, s25
	s_mul_i32 s27, s0, s23
	s_mul_hi_u32 s25, s23, s24
	s_mul_i32 s26, s23, s24
	s_mul_hi_u32 s23, s23, s27
	s_add_u32 s23, s23, s26
	s_addc_u32 s25, 0, s25
	s_mul_hi_u32 s28, s22, s27
	s_mul_i32 s27, s22, s27
	s_add_u32 s23, s23, s27
	s_mul_hi_u32 s26, s22, s24
	s_addc_u32 s23, s25, s28
	s_addc_u32 s25, s26, 0
	s_mul_i32 s24, s22, s24
	s_add_u32 s23, s23, s24
	s_addc_u32 s24, 0, s25
	v_add_co_u32_e32 v1, vcc, s23, v1
	s_cmp_lg_u64 vcc, 0
	s_addc_u32 s22, s22, s24
	v_readfirstlane_b32 s24, v1
	s_mul_i32 s23, s0, s22
	s_mul_hi_u32 s25, s0, s24
	s_add_i32 s23, s25, s23
	s_mul_i32 s1, s1, s24
	s_add_i32 s23, s23, s1
	s_mul_i32 s0, s0, s24
	s_mul_hi_u32 s25, s22, s0
	s_mul_i32 s26, s22, s0
	s_mul_i32 s28, s24, s23
	s_mul_hi_u32 s0, s24, s0
	s_mul_hi_u32 s27, s24, s23
	s_add_u32 s0, s0, s28
	s_addc_u32 s24, 0, s27
	s_add_u32 s0, s0, s26
	s_mul_hi_u32 s1, s22, s23
	s_addc_u32 s0, s24, s25
	s_addc_u32 s1, s1, 0
	s_mul_i32 s23, s22, s23
	s_add_u32 s0, s0, s23
	s_addc_u32 s1, 0, s1
	v_add_co_u32_e32 v1, vcc, s0, v1
	s_cmp_lg_u64 vcc, 0
	s_addc_u32 s0, s22, s1
	v_readfirstlane_b32 s22, v1
	s_mul_hi_u32 s1, s6, s0
	s_mul_i32 s0, s6, s0
	s_mul_hi_u32 s22, s6, s22
	s_add_u32 s0, s22, s0
	s_addc_u32 s1, 0, s1
	s_add_u32 s0, s0, 0
	s_addc_u32 s0, s1, 0
	s_addc_u32 s1, 0, 0
	s_add_u32 s22, s0, 0
	s_addc_u32 s23, 0, s1
	s_mul_i32 s0, s18, s23
	s_mul_hi_u32 s1, s18, s22
	s_add_i32 s0, s1, s0
	s_mul_i32 s1, s19, s22
	s_add_i32 s24, s0, s1
	s_mul_i32 s1, s18, s22
	v_mov_b32_e32 v1, s1
	s_sub_i32 s0, 0, s24
	v_sub_co_u32_e32 v1, vcc, s6, v1
	s_cmp_lg_u64 vcc, 0
	s_subb_u32 s25, s0, s19
	v_subrev_co_u32_e64 v2, s[0:1], s18, v1
	s_cmp_lg_u64 s[0:1], 0
	s_subb_u32 s0, s25, 0
	s_cmp_ge_u32 s0, s19
	v_readfirstlane_b32 s25, v2
	s_cselect_b32 s1, -1, 0
	s_cmp_ge_u32 s25, s18
	s_cselect_b32 s25, -1, 0
	s_cmp_eq_u32 s0, s19
	s_cselect_b32 s0, s25, s1
	s_add_u32 s1, s22, 1
	s_addc_u32 s25, s23, 0
	s_add_u32 s26, s22, 2
	s_addc_u32 s27, s23, 0
	s_cmp_lg_u32 s0, 0
	s_cselect_b32 s0, s26, s1
	s_cselect_b32 s1, s27, s25
	s_cmp_lg_u64 vcc, 0
	s_subb_u32 s24, 0, s24
	s_cmp_ge_u32 s24, s19
	v_readfirstlane_b32 s26, v1
	s_cselect_b32 s25, -1, 0
	s_cmp_ge_u32 s26, s18
	s_cselect_b32 s18, -1, 0
	s_cmp_eq_u32 s24, s19
	s_cselect_b32 s18, s18, s25
	s_cmp_lg_u32 s18, 0
	s_cselect_b32 s1, s1, s23
	s_cselect_b32 s0, s0, s22
	s_xor_b64 s[0:1], s[0:1], s[2:3]
	s_sub_u32 s18, s0, s2
	s_subb_u32 s19, s1, s2
	s_cbranch_execnz .LBB9_3
.LBB9_2:
	v_cvt_f32_u32_e32 v1, s12
	s_sub_i32 s0, 0, s12
	s_mov_b32 s19, 0
	v_rcp_iflag_f32_e32 v1, v1
	v_mul_f32_e32 v1, 0x4f7ffffe, v1
	v_cvt_u32_f32_e32 v1, v1
	v_readfirstlane_b32 s1, v1
	s_mul_i32 s0, s0, s1
	s_mul_hi_u32 s0, s1, s0
	s_add_i32 s1, s1, s0
	s_mul_hi_u32 s0, s6, s1
	s_mul_i32 s2, s0, s12
	s_sub_i32 s2, s6, s2
	s_add_i32 s1, s0, 1
	s_sub_i32 s3, s2, s12
	s_cmp_ge_u32 s2, s12
	s_cselect_b32 s0, s1, s0
	s_cselect_b32 s2, s3, s2
	s_add_i32 s1, s0, 1
	s_cmp_ge_u32 s2, s12
	s_cselect_b32 s18, s1, s0
.LBB9_3:
	s_mul_i32 s0, s18, s13
	s_mul_hi_u32 s1, s18, s12
	s_add_i32 s0, s1, s0
	s_mul_i32 s1, s19, s12
	s_add_i32 s0, s0, s1
	s_mul_i32 s1, s18, s12
	s_sub_u32 s12, s6, s1
	s_subb_u32 s13, 0, s0
	s_or_b64 s[0:1], s[12:13], s[8:9]
	s_mov_b32 s0, 0
	s_cmp_lg_u64 s[0:1], 0
	s_cbranch_scc0 .LBB9_20
; %bb.4:
	s_ashr_i32 s2, s9, 31
	s_add_u32 s0, s8, s2
	s_mov_b32 s3, s2
	s_addc_u32 s1, s9, s2
	s_xor_b64 s[22:23], s[0:1], s[2:3]
	v_cvt_f32_u32_e32 v1, s22
	v_cvt_f32_u32_e32 v2, s23
	s_sub_u32 s0, 0, s22
	s_subb_u32 s1, 0, s23
	v_madmk_f32 v1, v2, 0x4f800000, v1
	v_rcp_f32_e32 v1, v1
	v_mul_f32_e32 v1, 0x5f7ffffc, v1
	v_mul_f32_e32 v2, 0x2f800000, v1
	v_trunc_f32_e32 v2, v2
	v_madmk_f32 v1, v2, 0xcf800000, v1
	v_cvt_u32_f32_e32 v2, v2
	v_cvt_u32_f32_e32 v1, v1
	v_readfirstlane_b32 s24, v2
	v_readfirstlane_b32 s25, v1
	s_mul_i32 s26, s0, s24
	s_mul_hi_u32 s28, s0, s25
	s_mul_i32 s27, s1, s25
	s_add_i32 s26, s28, s26
	s_add_i32 s26, s26, s27
	s_mul_i32 s29, s0, s25
	s_mul_hi_u32 s27, s25, s26
	s_mul_i32 s28, s25, s26
	s_mul_hi_u32 s25, s25, s29
	s_add_u32 s25, s25, s28
	s_addc_u32 s27, 0, s27
	s_mul_hi_u32 s30, s24, s29
	s_mul_i32 s29, s24, s29
	s_add_u32 s25, s25, s29
	s_mul_hi_u32 s28, s24, s26
	s_addc_u32 s25, s27, s30
	s_addc_u32 s27, s28, 0
	s_mul_i32 s26, s24, s26
	s_add_u32 s25, s25, s26
	s_addc_u32 s26, 0, s27
	v_add_co_u32_e32 v1, vcc, s25, v1
	s_cmp_lg_u64 vcc, 0
	s_addc_u32 s24, s24, s26
	v_readfirstlane_b32 s26, v1
	s_mul_i32 s25, s0, s24
	s_mul_hi_u32 s27, s0, s26
	s_add_i32 s25, s27, s25
	s_mul_i32 s1, s1, s26
	s_add_i32 s25, s25, s1
	s_mul_i32 s0, s0, s26
	s_mul_hi_u32 s27, s24, s0
	s_mul_i32 s28, s24, s0
	s_mul_i32 s30, s26, s25
	s_mul_hi_u32 s0, s26, s0
	s_mul_hi_u32 s29, s26, s25
	s_add_u32 s0, s0, s30
	s_addc_u32 s26, 0, s29
	s_add_u32 s0, s0, s28
	s_mul_hi_u32 s1, s24, s25
	s_addc_u32 s0, s26, s27
	s_addc_u32 s1, s1, 0
	s_mul_i32 s25, s24, s25
	s_add_u32 s0, s0, s25
	s_addc_u32 s1, 0, s1
	v_add_co_u32_e32 v1, vcc, s0, v1
	s_cmp_lg_u64 vcc, 0
	s_addc_u32 s28, s24, s1
	s_ashr_i32 s24, s13, 31
	s_add_u32 s0, s12, s24
	s_mov_b32 s25, s24
	s_addc_u32 s1, s13, s24
	s_xor_b64 s[26:27], s[0:1], s[24:25]
	v_readfirstlane_b32 s29, v1
	s_mul_i32 s1, s26, s28
	s_mul_hi_u32 s30, s26, s29
	s_mul_hi_u32 s0, s26, s28
	s_add_u32 s1, s30, s1
	s_addc_u32 s0, 0, s0
	s_mul_hi_u32 s31, s27, s29
	s_mul_i32 s29, s27, s29
	s_add_u32 s1, s1, s29
	s_mul_hi_u32 s30, s27, s28
	s_addc_u32 s0, s0, s31
	s_addc_u32 s1, s30, 0
	s_mul_i32 s28, s27, s28
	s_add_u32 s28, s0, s28
	s_addc_u32 s29, 0, s1
	s_mul_i32 s0, s22, s29
	s_mul_hi_u32 s1, s22, s28
	s_add_i32 s0, s1, s0
	s_mul_i32 s1, s23, s28
	s_add_i32 s30, s0, s1
	s_mul_i32 s1, s22, s28
	v_mov_b32_e32 v1, s1
	s_sub_i32 s0, s27, s30
	v_sub_co_u32_e32 v1, vcc, s26, v1
	s_cmp_lg_u64 vcc, 0
	s_subb_u32 s26, s0, s23
	v_subrev_co_u32_e64 v2, s[0:1], s22, v1
	s_cmp_lg_u64 s[0:1], 0
	s_subb_u32 s0, s26, 0
	s_cmp_ge_u32 s0, s23
	v_readfirstlane_b32 s26, v2
	s_cselect_b32 s1, -1, 0
	s_cmp_ge_u32 s26, s22
	s_cselect_b32 s26, -1, 0
	s_cmp_eq_u32 s0, s23
	s_cselect_b32 s0, s26, s1
	s_add_u32 s1, s28, 1
	s_addc_u32 s26, s29, 0
	s_add_u32 s31, s28, 2
	s_addc_u32 s33, s29, 0
	s_cmp_lg_u32 s0, 0
	s_cselect_b32 s0, s31, s1
	s_cselect_b32 s1, s33, s26
	s_cmp_lg_u64 vcc, 0
	s_subb_u32 s26, s27, s30
	s_cmp_ge_u32 s26, s23
	v_readfirstlane_b32 s30, v1
	s_cselect_b32 s27, -1, 0
	s_cmp_ge_u32 s30, s22
	s_cselect_b32 s22, -1, 0
	s_cmp_eq_u32 s26, s23
	s_cselect_b32 s22, s22, s27
	s_cmp_lg_u32 s22, 0
	s_cselect_b32 s1, s1, s29
	s_cselect_b32 s0, s0, s28
	s_xor_b64 s[2:3], s[24:25], s[2:3]
	s_xor_b64 s[0:1], s[0:1], s[2:3]
	s_sub_u32 s22, s0, s2
	s_subb_u32 s23, s1, s3
	s_cbranch_execnz .LBB9_6
.LBB9_5:
	v_cvt_f32_u32_e32 v1, s8
	s_sub_i32 s0, 0, s8
	s_mov_b32 s23, 0
	v_rcp_iflag_f32_e32 v1, v1
	v_mul_f32_e32 v1, 0x4f7ffffe, v1
	v_cvt_u32_f32_e32 v1, v1
	v_readfirstlane_b32 s1, v1
	s_mul_i32 s0, s0, s1
	s_mul_hi_u32 s0, s1, s0
	s_add_i32 s1, s1, s0
	s_mul_hi_u32 s0, s12, s1
	s_mul_i32 s2, s0, s8
	s_sub_i32 s2, s12, s2
	s_add_i32 s1, s0, 1
	s_sub_i32 s3, s2, s8
	s_cmp_ge_u32 s2, s8
	s_cselect_b32 s0, s1, s0
	s_cselect_b32 s2, s3, s2
	s_add_i32 s1, s0, 1
	s_cmp_ge_u32 s2, s8
	s_cselect_b32 s22, s1, s0
.LBB9_6:
	s_load_dword s24, s[4:5], 0x54
	s_load_dwordx4 s[0:3], s[4:5], 0x0
	s_load_dwordx2 s[20:21], s[4:5], 0x10
	v_mov_b32_e32 v1, 0
	v_cmp_gt_i64_e32 vcc, s[10:11], v[0:1]
	s_waitcnt lgkmcnt(0)
	s_and_b32 s24, s24, 0xffff
	s_and_saveexec_b64 s[4:5], vcc
	s_cbranch_execz .LBB9_10
; %bb.7:
	s_mul_i32 s15, s18, s15
	s_mul_hi_u32 s25, s18, s14
	s_add_i32 s15, s25, s15
	s_mul_i32 s25, s19, s14
	s_add_i32 s15, s15, s25
	s_mul_i32 s14, s18, s14
	s_lshl_b64 s[14:15], s[14:15], 2
	s_add_u32 s14, s2, s14
	s_addc_u32 s15, s3, s15
	s_mul_i32 s2, s22, s11
	s_mul_hi_u32 s3, s22, s10
	s_add_i32 s2, s3, s2
	s_mul_i32 s3, s23, s10
	s_add_i32 s3, s2, s3
	s_mul_i32 s2, s22, s10
	s_lshl_b64 s[2:3], s[2:3], 2
	s_add_u32 s14, s14, s2
	s_addc_u32 s15, s15, s3
	s_lshl_b64 s[2:3], s[10:11], 2
	s_add_u32 s2, s14, s2
	s_mul_i32 s17, s18, s17
	s_mul_hi_u32 s26, s18, s16
	s_addc_u32 s3, s15, s3
	s_add_i32 s17, s26, s17
	s_mul_i32 s19, s19, s16
	s_add_i32 s17, s17, s19
	s_mul_i32 s16, s18, s16
	s_lshl_b64 s[16:17], s[16:17], 2
	s_add_u32 s16, s20, s16
	s_mul_i32 s9, s22, s9
	s_mul_hi_u32 s18, s22, s8
	s_addc_u32 s17, s21, s17
	s_add_i32 s9, s18, s9
	s_mul_i32 s18, s23, s8
	s_add_i32 s9, s9, s18
	s_mul_i32 s8, s22, s8
	s_sub_u32 s8, s12, s8
	s_subb_u32 s9, s13, s9
	s_mul_i32 s11, s8, s11
	s_mul_hi_u32 s12, s8, s10
	s_add_i32 s11, s12, s11
	s_mul_i32 s9, s9, s10
	s_add_i32 s9, s11, s9
	s_mul_i32 s8, s8, s10
	s_lshl_b64 s[8:9], s[8:9], 2
	v_lshlrev_b32_e32 v2, 2, v0
	s_add_u32 s10, s16, s8
	s_mov_b32 s25, 0
	v_mov_b32_e32 v3, 0
	v_mov_b32_e32 v1, s15
	v_add_co_u32_e32 v4, vcc, s14, v2
	s_addc_u32 s12, s17, s9
	v_addc_co_u32_e32 v5, vcc, 0, v1, vcc
	s_lshl_b32 s11, s24, 2
	s_mov_b64 s[8:9], 0
	v_mov_b32_e32 v6, s12
	v_mov_b32_e32 v7, s15
	s_lshl_b32 s12, s24, 2
	v_mov_b32_e32 v8, s25
	v_mov_b32_e32 v1, v3
.LBB9_8:                                ; =>This Inner Loop Header: Depth=1
	v_add_co_u32_e32 v10, vcc, s10, v2
	v_addc_co_u32_e32 v11, vcc, v6, v3, vcc
	v_add_co_u32_e32 v12, vcc, s14, v2
	v_addc_co_u32_e32 v13, vcc, v7, v3, vcc
	global_load_dword v9, v[12:13], off
	global_load_dword v14, v[10:11], off
	v_add_co_u32_e32 v4, vcc, s12, v4
	v_addc_co_u32_e32 v5, vcc, 0, v5, vcc
	v_add_co_u32_e32 v2, vcc, s11, v2
	v_addc_co_u32_e32 v3, vcc, v3, v8, vcc
	v_cmp_le_u64_e32 vcc, s[2:3], v[4:5]
	s_or_b64 s[8:9], vcc, s[8:9]
	s_waitcnt vmcnt(0)
	v_sub_f32_e32 v9, v9, v14
	v_cmp_lt_f32_e64 s[16:17], v1, |v9|
	v_cndmask_b32_e64 v1, v1, |v9|, s[16:17]
	s_andn2_b64 exec, exec, s[8:9]
	s_cbranch_execnz .LBB9_8
; %bb.9:
	s_or_b64 exec, exec, s[8:9]
.LBB9_10:
	s_or_b64 exec, exec, s[4:5]
	v_mbcnt_lo_u32_b32 v2, -1, 0
	v_mbcnt_hi_u32_b32 v6, -1, v2
	v_and_b32_e32 v9, 63, v6
	v_cmp_gt_u32_e32 vcc, 32, v9
	v_cndmask_b32_e64 v2, 0, 1, vcc
	v_lshlrev_b32_e32 v2, 5, v2
	v_add_lshl_u32 v2, v2, v6, 2
	ds_bpermute_b32 v3, v2, v1
	v_cmp_gt_u32_e32 vcc, 48, v9
	v_cndmask_b32_e64 v4, 0, 1, vcc
	v_and_b32_e32 v8, 63, v0
	s_waitcnt lgkmcnt(0)
	v_cmp_lt_f32_e32 vcc, v1, v3
	v_cndmask_b32_e32 v3, v1, v3, vcc
	v_lshlrev_b32_e32 v1, 4, v4
	v_add_lshl_u32 v1, v1, v6, 2
	ds_bpermute_b32 v4, v1, v3
	s_barrier
	s_waitcnt lgkmcnt(0)
	v_cmp_lt_f32_e32 vcc, v3, v4
	v_cndmask_b32_e32 v4, v3, v4, vcc
	v_cmp_gt_u32_e32 vcc, 56, v9
	v_cndmask_b32_e64 v3, 0, 1, vcc
	v_lshlrev_b32_e32 v3, 3, v3
	v_add_lshl_u32 v3, v3, v6, 2
	ds_bpermute_b32 v5, v3, v4
	s_waitcnt lgkmcnt(0)
	v_cmp_lt_f32_e32 vcc, v4, v5
	v_cndmask_b32_e32 v5, v4, v5, vcc
	v_cmp_gt_u32_e32 vcc, 60, v9
	v_cndmask_b32_e64 v4, 0, 1, vcc
	v_lshlrev_b32_e32 v4, 2, v4
	v_add_lshl_u32 v4, v4, v6, 2
	ds_bpermute_b32 v7, v4, v5
	;; [unrolled: 8-line block ×3, first 2 shown]
	s_waitcnt lgkmcnt(0)
	v_cmp_lt_f32_e32 vcc, v7, v10
	v_cndmask_b32_e32 v7, v7, v10, vcc
	v_cmp_ne_u32_e32 vcc, 63, v9
	v_addc_co_u32_e32 v6, vcc, 0, v6, vcc
	v_lshlrev_b32_e32 v6, 2, v6
	ds_bpermute_b32 v9, v6, v7
	v_cmp_eq_u32_e32 vcc, 0, v8
	s_and_saveexec_b64 s[2:3], vcc
	s_cbranch_execz .LBB9_12
; %bb.11:
	s_waitcnt lgkmcnt(0)
	v_cmp_lt_f32_e32 vcc, v7, v9
	v_cndmask_b32_e32 v7, v7, v9, vcc
	v_lshrrev_b32_e32 v9, 4, v0
	ds_write_b32 v9, v7
.LBB9_12:
	s_or_b64 exec, exec, s[2:3]
	s_lshr_b32 s2, s24, 6
	v_cmp_gt_u32_e32 vcc, s2, v0
	v_mov_b32_e32 v7, 0
	s_waitcnt lgkmcnt(0)
	s_barrier
	s_and_saveexec_b64 s[2:3], vcc
	s_cbranch_execnz .LBB9_16
; %bb.13:
	s_or_b64 exec, exec, s[2:3]
	v_cmp_gt_u32_e32 vcc, 64, v0
	s_and_saveexec_b64 s[2:3], vcc
	s_cbranch_execnz .LBB9_17
.LBB9_14:
	s_or_b64 exec, exec, s[2:3]
	v_cmp_eq_u32_e32 vcc, 0, v0
	s_and_saveexec_b64 s[2:3], vcc
	s_cbranch_execnz .LBB9_18
.LBB9_15:
	s_endpgm
.LBB9_16:
	v_lshlrev_b32_e32 v7, 2, v8
	ds_read_b32 v7, v7
	s_or_b64 exec, exec, s[2:3]
	v_cmp_gt_u32_e32 vcc, 64, v0
	s_and_saveexec_b64 s[2:3], vcc
	s_cbranch_execz .LBB9_14
.LBB9_17:
	s_waitcnt lgkmcnt(0)
	ds_bpermute_b32 v2, v2, v7
	s_waitcnt lgkmcnt(0)
	v_cmp_lt_f32_e32 vcc, v7, v2
	v_cndmask_b32_e32 v2, v7, v2, vcc
	ds_bpermute_b32 v1, v1, v2
	s_waitcnt lgkmcnt(0)
	v_cmp_lt_f32_e32 vcc, v2, v1
	v_cndmask_b32_e32 v1, v2, v1, vcc
	ds_bpermute_b32 v2, v3, v1
	s_waitcnt lgkmcnt(0)
	v_cmp_lt_f32_e32 vcc, v1, v2
	v_cndmask_b32_e32 v1, v1, v2, vcc
	ds_bpermute_b32 v2, v4, v1
	s_waitcnt lgkmcnt(0)
	v_cmp_lt_f32_e32 vcc, v1, v2
	v_cndmask_b32_e32 v1, v1, v2, vcc
	ds_bpermute_b32 v2, v5, v1
	s_waitcnt lgkmcnt(0)
	v_cmp_lt_f32_e32 vcc, v1, v2
	v_cndmask_b32_e32 v1, v1, v2, vcc
	ds_bpermute_b32 v2, v6, v1
	s_waitcnt lgkmcnt(0)
	v_cmp_lt_f32_e32 vcc, v1, v2
	v_cndmask_b32_e32 v7, v1, v2, vcc
	s_or_b64 exec, exec, s[2:3]
	v_cmp_eq_u32_e32 vcc, 0, v0
	s_and_saveexec_b64 s[2:3], vcc
	s_cbranch_execz .LBB9_15
.LBB9_18:
	s_lshl_b64 s[2:3], s[6:7], 2
	s_add_u32 s0, s0, s2
	s_addc_u32 s1, s1, s3
	v_mov_b32_e32 v0, 0
	s_waitcnt lgkmcnt(0)
	global_store_dword v0, v7, s[0:1]
	s_endpgm
.LBB9_19:
                                        ; implicit-def: $sgpr18_sgpr19
	s_branch .LBB9_2
.LBB9_20:
                                        ; implicit-def: $sgpr22_sgpr23
	s_branch .LBB9_5
	.section	.rodata,"a",@progbits
	.p2align	6, 0x0
	.amdhsa_kernel _ZN2at6native12_GLOBAL__N_122cdist_kernel_cuda_implIfNS1_5distsIfE3infEEEvPT_PKS6_S9_S6_lllll
		.amdhsa_group_segment_fixed_size 1024
		.amdhsa_private_segment_fixed_size 0
		.amdhsa_kernarg_size 328
		.amdhsa_user_sgpr_count 6
		.amdhsa_user_sgpr_private_segment_buffer 1
		.amdhsa_user_sgpr_dispatch_ptr 0
		.amdhsa_user_sgpr_queue_ptr 0
		.amdhsa_user_sgpr_kernarg_segment_ptr 1
		.amdhsa_user_sgpr_dispatch_id 0
		.amdhsa_user_sgpr_flat_scratch_init 0
		.amdhsa_user_sgpr_kernarg_preload_length 0
		.amdhsa_user_sgpr_kernarg_preload_offset 0
		.amdhsa_user_sgpr_private_segment_size 0
		.amdhsa_uses_dynamic_stack 0
		.amdhsa_system_sgpr_private_segment_wavefront_offset 0
		.amdhsa_system_sgpr_workgroup_id_x 1
		.amdhsa_system_sgpr_workgroup_id_y 0
		.amdhsa_system_sgpr_workgroup_id_z 0
		.amdhsa_system_sgpr_workgroup_info 0
		.amdhsa_system_vgpr_workitem_id 0
		.amdhsa_next_free_vgpr 15
		.amdhsa_next_free_sgpr 34
		.amdhsa_accum_offset 16
		.amdhsa_reserve_vcc 1
		.amdhsa_reserve_flat_scratch 0
		.amdhsa_float_round_mode_32 0
		.amdhsa_float_round_mode_16_64 0
		.amdhsa_float_denorm_mode_32 3
		.amdhsa_float_denorm_mode_16_64 3
		.amdhsa_dx10_clamp 1
		.amdhsa_ieee_mode 1
		.amdhsa_fp16_overflow 0
		.amdhsa_tg_split 0
		.amdhsa_exception_fp_ieee_invalid_op 0
		.amdhsa_exception_fp_denorm_src 0
		.amdhsa_exception_fp_ieee_div_zero 0
		.amdhsa_exception_fp_ieee_overflow 0
		.amdhsa_exception_fp_ieee_underflow 0
		.amdhsa_exception_fp_ieee_inexact 0
		.amdhsa_exception_int_div_zero 0
	.end_amdhsa_kernel
	.section	.text._ZN2at6native12_GLOBAL__N_122cdist_kernel_cuda_implIfNS1_5distsIfE3infEEEvPT_PKS6_S9_S6_lllll,"axG",@progbits,_ZN2at6native12_GLOBAL__N_122cdist_kernel_cuda_implIfNS1_5distsIfE3infEEEvPT_PKS6_S9_S6_lllll,comdat
.Lfunc_end9:
	.size	_ZN2at6native12_GLOBAL__N_122cdist_kernel_cuda_implIfNS1_5distsIfE3infEEEvPT_PKS6_S9_S6_lllll, .Lfunc_end9-_ZN2at6native12_GLOBAL__N_122cdist_kernel_cuda_implIfNS1_5distsIfE3infEEEvPT_PKS6_S9_S6_lllll
                                        ; -- End function
	.section	.AMDGPU.csdata,"",@progbits
; Kernel info:
; codeLenInByte = 2296
; NumSgprs: 38
; NumVgprs: 15
; NumAgprs: 0
; TotalNumVgprs: 15
; ScratchSize: 0
; MemoryBound: 0
; FloatMode: 240
; IeeeMode: 1
; LDSByteSize: 1024 bytes/workgroup (compile time only)
; SGPRBlocks: 4
; VGPRBlocks: 1
; NumSGPRsForWavesPerEU: 38
; NumVGPRsForWavesPerEU: 15
; AccumOffset: 16
; Occupancy: 8
; WaveLimiterHint : 0
; COMPUTE_PGM_RSRC2:SCRATCH_EN: 0
; COMPUTE_PGM_RSRC2:USER_SGPR: 6
; COMPUTE_PGM_RSRC2:TRAP_HANDLER: 0
; COMPUTE_PGM_RSRC2:TGID_X_EN: 1
; COMPUTE_PGM_RSRC2:TGID_Y_EN: 0
; COMPUTE_PGM_RSRC2:TGID_Z_EN: 0
; COMPUTE_PGM_RSRC2:TIDIG_COMP_CNT: 0
; COMPUTE_PGM_RSRC3_GFX90A:ACCUM_OFFSET: 3
; COMPUTE_PGM_RSRC3_GFX90A:TG_SPLIT: 0
	.section	.text._ZN2at6native12_GLOBAL__N_122pdist_kernel_cuda_implIdNS1_5distsIdE1pEEEvPT_PKS6_llS6_dd,"axG",@progbits,_ZN2at6native12_GLOBAL__N_122pdist_kernel_cuda_implIdNS1_5distsIdE1pEEEvPT_PKS6_llS6_dd,comdat
	.globl	_ZN2at6native12_GLOBAL__N_122pdist_kernel_cuda_implIdNS1_5distsIdE1pEEEvPT_PKS6_llS6_dd ; -- Begin function _ZN2at6native12_GLOBAL__N_122pdist_kernel_cuda_implIdNS1_5distsIdE1pEEEvPT_PKS6_llS6_dd
	.p2align	8
	.type	_ZN2at6native12_GLOBAL__N_122pdist_kernel_cuda_implIdNS1_5distsIdE1pEEEvPT_PKS6_llS6_dd,@function
_ZN2at6native12_GLOBAL__N_122pdist_kernel_cuda_implIdNS1_5distsIdE1pEEEvPT_PKS6_llS6_dd: ; @_ZN2at6native12_GLOBAL__N_122pdist_kernel_cuda_implIdNS1_5distsIdE1pEEEvPT_PKS6_llS6_dd
; %bb.0:
	s_load_dword s0, s[4:5], 0x44
	s_load_dwordx8 s[12:19], s[4:5], 0x0
	s_load_dwordx8 s[20:27], s[4:5], 0x20
	v_mov_b32_e32 v2, 0
	v_mov_b32_e32 v1, v2
	s_mov_b32 s7, 0
	s_waitcnt lgkmcnt(0)
	s_and_b32 s33, s0, 0xffff
	v_cmp_gt_i64_e32 vcc, s[18:19], v[0:1]
	v_pk_mov_b32 v[10:11], 0, 0
	s_and_saveexec_b64 s[26:27], vcc
	s_cbranch_execz .LBB10_4
; %bb.1:
	s_lshl_b64 s[0:1], s[6:7], 1
	v_cvt_f64_u32_e32 v[4:5], s1
	v_ldexp_f64 v[4:5], v[4:5], 32
	v_cvt_f64_u32_e32 v[6:7], s0
	v_add_f64 v[4:5], v[4:5], v[6:7]
	s_mov_b32 s0, 0
	v_add_f64 v[4:5], s[24:25], -v[4:5]
	s_brev_b32 s1, 8
	v_cmp_gt_f64_e32 vcc, s[0:1], v[4:5]
	v_cndmask_b32_e64 v1, 0, 1, vcc
	v_lshlrev_b32_e32 v1, 8, v1
	v_ldexp_f64 v[4:5], v[4:5], v1
	v_rsq_f64_e32 v[6:7], v[4:5]
	s_and_b64 s[0:1], vcc, exec
	s_cselect_b32 s0, 0xffffff80, 0
	v_mov_b32_e32 v1, 0x260
	v_mul_f64 v[8:9], v[4:5], v[6:7]
	v_mul_f64 v[6:7], v[6:7], 0.5
	v_fma_f64 v[10:11], -v[6:7], v[8:9], 0.5
	v_fmac_f64_e32 v[8:9], v[8:9], v[10:11]
	v_fma_f64 v[12:13], -v[8:9], v[8:9], v[4:5]
	v_fmac_f64_e32 v[6:7], v[6:7], v[10:11]
	v_fmac_f64_e32 v[8:9], v[12:13], v[6:7]
	v_fma_f64 v[10:11], -v[8:9], v[8:9], v[4:5]
	v_fmac_f64_e32 v[8:9], v[10:11], v[6:7]
	v_ldexp_f64 v[6:7], v[8:9], s0
	v_cmp_class_f64_e32 vcc, v[4:5], v1
	v_cndmask_b32_e32 v5, v7, v5, vcc
	v_cndmask_b32_e32 v4, v6, v4, vcc
	v_add_f64 v[4:5], s[22:23], -v[4:5]
	v_trunc_f64_e32 v[4:5], v[4:5]
	s_movk_i32 s0, 0xffe0
	v_ldexp_f64 v[6:7], v[4:5], s0
	v_floor_f64_e32 v[6:7], v[6:7]
	v_fmac_f64_e32 v[4:5], 0xc1f00000, v[6:7]
	v_cvt_u32_f64_e32 v1, v[4:5]
	v_cvt_i32_f64_e32 v3, v[6:7]
	v_mul_lo_u32 v4, v1, s19
	v_mul_hi_u32 v5, v1, s18
	v_readfirstlane_b32 s3, v3
	v_add_u32_e32 v4, v5, v4
	v_mul_lo_u32 v3, v3, s18
	v_add_u32_e32 v5, v4, v3
	v_mul_lo_u32 v4, v1, s18
	v_lshlrev_b64 v[4:5], 3, v[4:5]
	v_readfirstlane_b32 s2, v1
	v_mov_b32_e32 v1, s15
	v_add_co_u32_e32 v3, vcc, s14, v4
	v_addc_co_u32_e32 v1, vcc, v1, v5, vcc
	s_lshl_b64 s[0:1], s[18:19], 3
	v_add_co_u32_e32 v6, vcc, s0, v3
	s_add_u32 s0, s2, 1
	v_mov_b32_e32 v7, s1
	s_addc_u32 s1, s3, 0
	s_add_u32 s4, s0, s6
	s_mul_i32 s8, s2, s17
	s_mul_hi_u32 s9, s2, s16
	s_addc_u32 s5, s1, 0
	s_add_i32 s8, s9, s8
	s_mul_i32 s9, s3, s16
	s_add_i32 s8, s8, s9
	s_mul_i32 s9, s2, s16
	s_sub_u32 s4, s4, s9
	s_subb_u32 s5, s5, s8
	s_mul_hi_u32 s8, s0, s2
	s_mul_i32 s3, s0, s3
	s_mul_i32 s1, s1, s2
	s_add_i32 s3, s8, s3
	s_add_i32 s3, s3, s1
	s_mul_i32 s0, s0, s2
	s_lshr_b32 s1, s3, 31
	s_add_u32 s0, s0, s1
	s_addc_u32 s1, s3, 0
	s_lshr_b64 s[0:1], s[0:1], 1
	s_add_u32 s0, s4, s0
	s_addc_u32 s1, s5, s1
	v_addc_co_u32_e32 v7, vcc, v1, v7, vcc
	v_lshlrev_b32_e32 v10, 3, v0
	s_mul_i32 s1, s18, s1
	s_mul_hi_u32 s2, s18, s0
	v_add_co_u32_e32 v8, vcc, v3, v10
	s_add_i32 s1, s2, s1
	s_mul_i32 s2, s19, s0
	v_addc_co_u32_e32 v9, vcc, 0, v1, vcc
	s_add_i32 s1, s1, s2
	s_mul_i32 s0, s18, s0
	s_lshl_b64 s[16:17], s[0:1], 3
	v_mov_b32_e32 v1, s15
	v_add_co_u32_e32 v12, vcc, s14, v10
	s_mov_b32 s18, 0x55555555
	s_mov_b32 s22, 0x4222de17
	;; [unrolled: 1-line block ×10, first 2 shown]
	v_addc_co_u32_e32 v1, vcc, 0, v1, vcc
	s_lshl_b32 s50, s33, 3
	s_mov_b32 s51, s7
	s_mov_b64 s[14:15], 0
	v_pk_mov_b32 v[10:11], 0, 0
	v_mov_b32_e32 v13, s17
	v_mov_b32_e32 v70, s21
	;; [unrolled: 1-line block ×4, first 2 shown]
	s_mov_b32 s19, 0x3fe55555
	v_mov_b32_e32 v14, 0x968915a9
	v_mov_b32_e32 v15, 0x3fba6564
	s_mov_b32 s23, 0x3fbdee67
	s_mov_b32 s25, 0x3fe62e42
	;; [unrolled: 1-line block ×5, first 2 shown]
	s_movk_i32 s17, 0x204
	s_mov_b32 s37, 0x7ff00000
	s_mov_b32 s39, 0x3ff71547
	;; [unrolled: 1-line block ×7, first 2 shown]
	s_lshl_b32 s52, s33, 3
	v_mov_b32_e32 v16, 0x3abe935a
	v_mov_b32_e32 v17, 0x3fbe25e4
	;; [unrolled: 1-line block ×34, first 2 shown]
.LBB10_2:                               ; =>This Inner Loop Header: Depth=1
	v_add_co_u32_e32 v48, vcc, s16, v12
	v_addc_co_u32_e32 v49, vcc, v1, v13, vcc
	v_add_co_u32_e32 v50, vcc, v12, v4
	v_addc_co_u32_e32 v51, vcc, v1, v5, vcc
	global_load_dwordx2 v[50:51], v[50:51], off
	s_nop 0
	global_load_dwordx2 v[48:49], v[48:49], off
	v_pk_mov_b32 v[68:69], v[18:19], v[18:19] op_sel:[0,1]
	v_pk_mov_b32 v[56:57], v[20:21], v[20:21] op_sel:[0,1]
	;; [unrolled: 1-line block ×3, first 2 shown]
	s_mov_b32 s30, s18
	s_and_b32 s4, s21, 0x7fffffff
	v_add_co_u32_e64 v12, s[2:3], s50, v12
	s_mov_b32 s40, s24
	s_mov_b32 s42, s28
	s_waitcnt vmcnt(0)
	v_add_f64 v[50:51], v[50:51], -v[48:49]
	v_cmp_eq_f64_e64 vcc, |v[50:51]|, 1.0
	v_cndmask_b32_e32 v49, v70, v71, vcc
	v_cndmask_b32_e64 v48, v72, 0, vcc
	v_and_b32_e32 v3, 0x7fffffff, v51
	v_cmp_neq_f64_e64 s[0:1], 0, v[48:49]
	v_cndmask_b32_e64 v51, v71, v3, s[0:1]
	v_cndmask_b32_e64 v50, 0, v50, s[0:1]
	v_frexp_mant_f64_e32 v[52:53], v[50:51]
	v_cmp_gt_f64_e64 s[0:1], s[18:19], v[52:53]
	v_cndmask_b32_e64 v3, v71, 2.0, s[0:1]
	v_mul_f64 v[52:53], v[52:53], v[2:3]
	v_add_f64 v[54:55], v[52:53], 1.0
	v_rcp_f64_e32 v[62:63], v[54:55]
	v_add_f64 v[64:65], v[54:55], -1.0
	v_add_f64 v[60:61], v[52:53], -1.0
	v_add_f64 v[52:53], v[52:53], -v[64:65]
	v_fma_f64 v[64:65], -v[54:55], v[62:63], 1.0
	v_fmac_f64_e32 v[62:63], v[64:65], v[62:63]
	v_fma_f64 v[64:65], -v[54:55], v[62:63], 1.0
	v_fmac_f64_e32 v[62:63], v[64:65], v[62:63]
	v_mul_f64 v[64:65], v[60:61], v[62:63]
	v_mul_f64 v[66:67], v[54:55], v[64:65]
	v_fma_f64 v[54:55], v[64:65], v[54:55], -v[66:67]
	v_fmac_f64_e32 v[54:55], v[64:65], v[52:53]
	v_add_f64 v[52:53], v[66:67], v[54:55]
	v_add_f64 v[66:67], v[52:53], -v[66:67]
	v_add_f64 v[54:55], v[66:67], -v[54:55]
	v_add_f64 v[66:67], v[60:61], -v[52:53]
	v_add_f64 v[60:61], v[60:61], -v[66:67]
	v_add_f64 v[52:53], v[60:61], -v[52:53]
	v_add_f64 v[52:53], v[54:55], v[52:53]
	v_add_f64 v[52:53], v[66:67], v[52:53]
	v_mul_f64 v[52:53], v[62:63], v[52:53]
	v_add_f64 v[54:55], v[64:65], v[52:53]
	v_add_f64 v[62:63], v[54:55], -v[64:65]
	v_mul_f64 v[64:65], v[54:55], v[54:55]
	v_add_f64 v[52:53], v[52:53], -v[62:63]
	v_fma_f64 v[66:67], v[54:55], v[54:55], -v[64:65]
	v_add_f64 v[62:63], v[52:53], v[52:53]
	v_fmac_f64_e32 v[66:67], v[54:55], v[62:63]
	v_add_f64 v[62:63], v[64:65], v[66:67]
	v_add_f64 v[64:65], v[62:63], -v[64:65]
	v_add_f64 v[64:65], v[66:67], -v[64:65]
	v_fma_f64 v[66:67], s[22:23], v[62:63], v[14:15]
	v_fma_f64 v[66:67], v[62:63], v[66:67], v[16:17]
	v_fmac_f64_e32 v[68:69], v[62:63], v[66:67]
	v_fmac_f64_e32 v[56:57], v[62:63], v[68:69]
	v_pk_mov_b32 v[60:61], v[24:25], v[24:25] op_sel:[0,1]
	v_fmac_f64_e32 v[58:59], v[62:63], v[56:57]
	v_pk_mov_b32 v[66:67], v[26:27], v[26:27] op_sel:[0,1]
	;; [unrolled: 2-line block ×3, first 2 shown]
	v_fmac_f64_e32 v[66:67], v[62:63], v[60:61]
	v_mul_f64 v[56:57], v[54:55], v[62:63]
	v_fmac_f64_e32 v[68:69], v[62:63], v[66:67]
	v_fma_f64 v[58:59], v[62:63], v[54:55], -v[56:57]
	v_mul_f64 v[66:67], v[62:63], v[68:69]
	v_fmac_f64_e32 v[58:59], v[62:63], v[52:53]
	v_fma_f64 v[62:63], v[62:63], v[68:69], -v[66:67]
	v_fmac_f64_e32 v[62:63], v[64:65], v[68:69]
	v_fmac_f64_e32 v[58:59], v[64:65], v[54:55]
	v_add_f64 v[64:65], v[66:67], v[62:63]
	v_add_f64 v[66:67], v[64:65], -v[66:67]
	v_add_f64 v[68:69], v[64:65], s[18:19]
	v_add_f64 v[62:63], v[62:63], -v[66:67]
	;; [unrolled: 2-line block ×3, first 2 shown]
	v_add_f64 v[62:63], v[62:63], s[34:35]
	v_add_f64 v[62:63], v[62:63], v[64:65]
	;; [unrolled: 1-line block ×4, first 2 shown]
	v_add_f64 v[66:67], v[68:69], -v[64:65]
	v_mul_f64 v[68:69], v[60:61], v[64:65]
	v_add_f64 v[62:63], v[62:63], v[66:67]
	v_fma_f64 v[66:67], v[60:61], v[64:65], -v[68:69]
	v_fmac_f64_e32 v[66:67], v[60:61], v[62:63]
	v_mov_b32_e32 v62, s51
	v_mov_b32_e32 v3, s20
	v_addc_co_u32_e64 v1, s[2:3], v1, v62, s[2:3]
	v_mov_b32_e32 v62, s4
	v_cndmask_b32_e32 v63, v62, v71, vcc
	v_cndmask_b32_e64 v62, v3, 0, vcc
	v_frexp_exp_i32_f64_e32 v3, v[50:51]
	v_add_f64 v[56:57], v[60:61], -v[56:57]
	v_subbrev_co_u32_e64 v3, vcc, 0, v3, s[0:1]
	v_add_f64 v[56:57], v[58:59], -v[56:57]
	v_cvt_f64_i32_e32 v[58:59], v3
	v_fmac_f64_e32 v[66:67], v[56:57], v[64:65]
	v_mul_f64 v[56:57], v[58:59], s[24:25]
	v_fma_f64 v[64:65], v[58:59], s[24:25], -v[56:57]
	v_fmac_f64_e32 v[64:65], s[28:29], v[58:59]
	v_add_f64 v[58:59], v[56:57], v[64:65]
	v_add_f64 v[56:57], v[58:59], -v[56:57]
	v_add_f64 v[56:57], v[64:65], -v[56:57]
	v_add_f64 v[64:65], v[68:69], v[66:67]
	v_ldexp_f64 v[54:55], v[54:55], 1
	v_add_f64 v[68:69], v[64:65], -v[68:69]
	v_add_f64 v[66:67], v[66:67], -v[68:69]
	v_add_f64 v[68:69], v[54:55], v[64:65]
	v_add_f64 v[54:55], v[68:69], -v[54:55]
	v_ldexp_f64 v[52:53], v[52:53], 1
	v_add_f64 v[54:55], v[64:65], -v[54:55]
	v_add_f64 v[52:53], v[52:53], v[66:67]
	v_add_f64 v[52:53], v[52:53], v[54:55]
	;; [unrolled: 1-line block ×3, first 2 shown]
	v_add_f64 v[66:67], v[54:55], -v[68:69]
	v_add_f64 v[68:69], v[58:59], v[54:55]
	v_add_f64 v[52:53], v[52:53], -v[66:67]
	v_add_f64 v[66:67], v[68:69], -v[58:59]
	;; [unrolled: 1-line block ×5, first 2 shown]
	v_add_f64 v[66:67], v[56:57], v[52:53]
	v_add_f64 v[54:55], v[54:55], v[58:59]
	v_add_f64 v[58:59], v[66:67], -v[56:57]
	v_add_f64 v[52:53], v[52:53], -v[58:59]
	;; [unrolled: 1-line block ×4, first 2 shown]
	v_add_f64 v[54:55], v[66:67], v[54:55]
	v_add_f64 v[52:53], v[52:53], v[56:57]
	;; [unrolled: 1-line block ×3, first 2 shown]
	v_add_f64 v[68:69], v[56:57], -v[68:69]
	v_add_f64 v[54:55], v[54:55], -v[68:69]
	v_add_f64 v[52:53], v[52:53], v[54:55]
	v_add_f64 v[54:55], v[56:57], v[52:53]
	v_add_f64 v[56:57], v[54:55], -v[56:57]
	v_mul_f64 v[68:69], v[48:49], v[54:55]
	v_add_f64 v[52:53], v[52:53], -v[56:57]
	v_fma_f64 v[54:55], v[48:49], v[54:55], -v[68:69]
	v_fmac_f64_e32 v[54:55], v[48:49], v[52:53]
	v_add_f64 v[52:53], v[68:69], v[54:55]
	v_cmp_class_f64_e64 vcc, v[68:69], s17
	v_cndmask_b32_e32 v57, v53, v69, vcc
	v_cndmask_b32_e32 v56, v52, v68, vcc
	v_add_f64 v[52:53], v[52:53], -v[68:69]
	v_add_f64 v[52:53], v[54:55], -v[52:53]
	v_mul_f64 v[54:55], v[56:57], s[38:39]
	v_rndne_f64_e32 v[54:55], v[54:55]
	v_fma_f64 v[68:69], s[40:41], v[54:55], v[56:57]
	v_pk_mov_b32 v[60:61], v[30:31], v[30:31] op_sel:[0,1]
	v_fmac_f64_e32 v[68:69], s[42:43], v[54:55]
	v_pk_mov_b32 v[64:65], v[32:33], v[32:33] op_sel:[0,1]
	v_fmac_f64_e32 v[60:61], s[44:45], v[68:69]
	;; [unrolled: 2-line block ×7, first 2 shown]
	v_pk_mov_b32 v[66:67], v[44:45], v[44:45] op_sel:[0,1]
	v_cmp_neq_f64_e64 s[0:1], v[48:49], v[62:63]
	v_cmp_gt_f64_e64 s[4:5], 1.0, v[50:51]
	v_fmac_f64_e32 v[58:59], v[68:69], v[64:65]
	v_pk_mov_b32 v[60:61], v[46:47], v[46:47] op_sel:[0,1]
	s_xor_b64 s[0:1], s[0:1], s[4:5]
	v_fmac_f64_e32 v[66:67], v[68:69], v[58:59]
	v_cndmask_b32_e64 v3, v63, 0, s[0:1]
	v_cvt_i32_f64_e32 v65, v[54:55]
	v_cndmask_b32_e64 v54, v62, 0, s[0:1]
	v_cmp_eq_f64_e64 s[0:1], 1.0, v[50:51]
	v_fmac_f64_e32 v[60:61], v[68:69], v[66:67]
	v_cndmask_b32_e64 v75, v54, v50, s[0:1]
	v_fma_f64 v[54:55], v[68:69], v[60:61], 1.0
	v_cmp_gt_f64_e64 s[2:3], 0, v[48:49]
	v_cmp_eq_f64_e64 s[10:11], 0, v[50:51]
	v_fma_f64 v[54:55], v[68:69], v[54:55], 1.0
	s_xor_b64 s[2:3], s[2:3], s[10:11]
	v_cndmask_b32_e64 v3, v3, v51, s[0:1]
	v_ldexp_f64 v[54:55], v[54:55], v65
	v_cmp_lt_f64_e64 s[0:1], s[46:47], v[56:57]
	v_cndmask_b32_e64 v64, v73, 0, s[2:3]
	v_cndmask_b32_e64 v58, v55, v73, s[0:1]
	v_and_b32_e32 v55, 0x7fffffff, v55
	v_cndmask_b32_e64 v59, v54, 0, s[0:1]
	v_cmp_ngt_f64_e64 s[2:3], s[48:49], v[56:57]
	v_cmp_neq_f64_e64 vcc, |v[56:57]|, s[36:37]
	v_cmp_eq_f64_e64 s[4:5], s[36:37], v[54:55]
	v_cndmask_b32_e64 v55, 0, v58, s[2:3]
	v_cndmask_b32_e64 v54, 0, v59, s[2:3]
	v_cndmask_b32_e32 v53, 0, v53, vcc
	v_cndmask_b32_e32 v52, 0, v52, vcc
	v_pk_mov_b32 v[56:57], v[54:55], v[54:55] op_sel:[0,1]
	s_or_b64 s[0:1], s[0:1], s[4:5]
	v_fmac_f64_e32 v[56:57], v[56:57], v[52:53]
	s_and_b64 s[0:1], s[2:3], s[0:1]
	v_add_co_u32_e32 v8, vcc, s52, v8
	v_cndmask_b32_e64 v52, v57, v55, s[0:1]
	v_addc_co_u32_e32 v9, vcc, 0, v9, vcc
	v_cmp_eq_f64_e64 s[8:9], s[36:37], v[50:51]
	v_cndmask_b32_e64 v53, v56, v54, s[0:1]
	v_cmp_eq_f64_e64 s[0:1], s[36:37], v[62:63]
	v_and_b32_e32 v52, 0x7fffffff, v52
	v_cmp_ge_u64_e32 vcc, v[8:9], v[6:7]
	v_cndmask_b32_e64 v53, v53, v75, s[0:1]
	s_or_b64 s[2:3], s[8:9], s[10:11]
	v_cndmask_b32_e64 v3, v52, v3, s[0:1]
	s_or_b64 s[14:15], vcc, s[14:15]
	v_cndmask_b32_e64 v52, v53, 0, s[2:3]
	v_cmp_o_f64_e32 vcc, v[50:51], v[48:49]
	v_cndmask_b32_e64 v3, v3, v64, s[2:3]
	v_cndmask_b32_e32 v48, 0, v52, vcc
	v_cndmask_b32_e32 v49, v74, v3, vcc
	v_add_f64 v[10:11], v[10:11], v[48:49]
	s_andn2_b64 exec, exec, s[14:15]
	s_cbranch_execnz .LBB10_2
; %bb.3:
	s_or_b64 exec, exec, s[14:15]
.LBB10_4:
	s_or_b64 exec, exec, s[26:27]
	v_mbcnt_lo_u32_b32 v1, -1, 0
	v_mbcnt_hi_u32_b32 v8, -1, v1
	v_and_b32_e32 v9, 63, v8
	v_cmp_gt_u32_e32 vcc, 32, v9
	v_cndmask_b32_e64 v1, 0, 1, vcc
	v_lshlrev_b32_e32 v1, 5, v1
	v_add_lshl_u32 v1, v1, v8, 2
	ds_bpermute_b32 v2, v1, v10
	ds_bpermute_b32 v3, v1, v11
	v_cmp_gt_u32_e32 vcc, 48, v9
	v_cndmask_b32_e64 v4, 0, 1, vcc
	v_lshlrev_b32_e32 v4, 4, v4
	v_add_lshl_u32 v6, v4, v8, 2
	s_waitcnt lgkmcnt(0)
	v_add_f64 v[2:3], v[10:11], v[2:3]
	ds_bpermute_b32 v4, v6, v2
	ds_bpermute_b32 v5, v6, v3
	v_cmp_gt_u32_e32 vcc, 56, v9
	v_and_b32_e32 v13, 63, v0
	s_waitcnt lgkmcnt(0)
	s_barrier
	v_add_f64 v[2:3], v[2:3], v[4:5]
	v_cndmask_b32_e64 v4, 0, 1, vcc
	v_lshlrev_b32_e32 v4, 3, v4
	v_add_lshl_u32 v7, v4, v8, 2
	ds_bpermute_b32 v4, v7, v2
	ds_bpermute_b32 v5, v7, v3
	v_cmp_gt_u32_e32 vcc, 60, v9
	s_waitcnt lgkmcnt(0)
	v_add_f64 v[2:3], v[2:3], v[4:5]
	v_cndmask_b32_e64 v4, 0, 1, vcc
	v_lshlrev_b32_e32 v4, 2, v4
	v_add_lshl_u32 v10, v4, v8, 2
	ds_bpermute_b32 v4, v10, v2
	ds_bpermute_b32 v5, v10, v3
	v_cmp_gt_u32_e32 vcc, 62, v9
	s_waitcnt lgkmcnt(0)
	v_add_f64 v[2:3], v[2:3], v[4:5]
	v_cndmask_b32_e64 v4, 0, 1, vcc
	v_lshlrev_b32_e32 v4, 1, v4
	v_add_lshl_u32 v11, v4, v8, 2
	ds_bpermute_b32 v4, v11, v2
	ds_bpermute_b32 v5, v11, v3
	v_cmp_ne_u32_e32 vcc, 63, v9
	s_waitcnt lgkmcnt(0)
	v_add_f64 v[2:3], v[2:3], v[4:5]
	v_addc_co_u32_e32 v4, vcc, 0, v8, vcc
	v_lshlrev_b32_e32 v12, 2, v4
	ds_bpermute_b32 v4, v12, v2
	ds_bpermute_b32 v5, v12, v3
	v_cmp_eq_u32_e32 vcc, 0, v13
	s_and_saveexec_b64 s[0:1], vcc
	s_cbranch_execz .LBB10_6
; %bb.5:
	v_lshrrev_b32_e32 v8, 3, v0
	s_waitcnt lgkmcnt(0)
	v_add_f64 v[2:3], v[2:3], v[4:5]
	ds_write_b64 v8, v[2:3]
.LBB10_6:
	s_or_b64 exec, exec, s[0:1]
	s_lshr_b32 s0, s33, 6
	v_cmp_gt_u32_e32 vcc, s0, v0
	v_pk_mov_b32 v[8:9], 0, 0
	s_waitcnt lgkmcnt(0)
	s_barrier
	s_and_saveexec_b64 s[0:1], vcc
	s_cbranch_execnz .LBB10_10
; %bb.7:
	s_or_b64 exec, exec, s[0:1]
	v_cmp_gt_u32_e32 vcc, 64, v0
	s_and_saveexec_b64 s[0:1], vcc
	s_cbranch_execnz .LBB10_11
.LBB10_8:
	s_or_b64 exec, exec, s[0:1]
	v_cmp_eq_u32_e32 vcc, 0, v0
	s_and_saveexec_b64 s[0:1], vcc
	s_cbranch_execnz .LBB10_12
.LBB10_9:
	s_endpgm
.LBB10_10:
	v_lshlrev_b32_e32 v2, 3, v13
	ds_read_b64 v[8:9], v2
	s_or_b64 exec, exec, s[0:1]
	v_cmp_gt_u32_e32 vcc, 64, v0
	s_and_saveexec_b64 s[0:1], vcc
	s_cbranch_execz .LBB10_8
.LBB10_11:
	s_waitcnt lgkmcnt(0)
	ds_bpermute_b32 v2, v1, v8
	ds_bpermute_b32 v3, v1, v9
	s_waitcnt lgkmcnt(0)
	v_add_f64 v[2:3], v[8:9], v[2:3]
	ds_bpermute_b32 v4, v6, v2
	ds_bpermute_b32 v5, v6, v3
	s_waitcnt lgkmcnt(0)
	v_add_f64 v[2:3], v[2:3], v[4:5]
	;; [unrolled: 4-line block ×6, first 2 shown]
	s_or_b64 exec, exec, s[0:1]
	v_cmp_eq_u32_e32 vcc, 0, v0
	s_and_saveexec_b64 s[0:1], vcc
	s_cbranch_execz .LBB10_9
.LBB10_12:
	v_div_scale_f64 v[0:1], s[0:1], s[20:21], s[20:21], 1.0
	v_rcp_f64_e32 v[2:3], v[0:1]
	v_div_scale_f64 v[4:5], vcc, 1.0, s[20:21], 1.0
	v_mov_b32_e32 v10, 0x3ff00000
	v_fma_f64 v[6:7], -v[0:1], v[2:3], 1.0
	v_fmac_f64_e32 v[2:3], v[2:3], v[6:7]
	v_fma_f64 v[6:7], -v[0:1], v[2:3], 1.0
	v_fmac_f64_e32 v[2:3], v[2:3], v[6:7]
	v_mul_f64 v[6:7], v[4:5], v[2:3]
	v_fma_f64 v[0:1], -v[0:1], v[6:7], v[4:5]
	v_div_fmas_f64 v[0:1], v[0:1], v[2:3], v[6:7]
	v_div_fixup_f64 v[6:7], v[0:1], s[20:21], 1.0
	s_waitcnt lgkmcnt(0)
	v_cmp_eq_f64_e32 vcc, 1.0, v[8:9]
	v_cndmask_b32_e32 v3, v7, v10, vcc
	v_cndmask_b32_e64 v2, v6, 0, vcc
	v_cmp_eq_f64_e64 s[0:1], 0, v[2:3]
	v_and_b32_e32 v1, 0x7fffffff, v9
	v_cndmask_b32_e64 v5, v9, v10, s[0:1]
	v_cndmask_b32_e64 v4, v8, 0, s[0:1]
	v_cndmask_b32_e64 v9, v1, v10, s[0:1]
	v_cndmask_b32_e64 v8, v8, 0, s[0:1]
	v_frexp_mant_f64_e32 v[12:13], v[8:9]
	s_mov_b32 s3, 0x3fe55555
	s_mov_b32 s2, 0x55555555
	v_cmp_gt_f64_e64 s[0:1], s[2:3], v[12:13]
	v_mov_b32_e32 v0, 0
	v_cndmask_b32_e64 v1, v10, 2.0, s[0:1]
	v_mul_f64 v[12:13], v[12:13], v[0:1]
	v_add_f64 v[14:15], v[12:13], 1.0
	v_rcp_f64_e32 v[16:17], v[14:15]
	v_add_f64 v[20:21], v[14:15], -1.0
	v_add_f64 v[18:19], v[12:13], -1.0
	v_add_f64 v[12:13], v[12:13], -v[20:21]
	v_fma_f64 v[20:21], -v[14:15], v[16:17], 1.0
	v_fmac_f64_e32 v[16:17], v[20:21], v[16:17]
	v_fma_f64 v[20:21], -v[14:15], v[16:17], 1.0
	v_fmac_f64_e32 v[16:17], v[20:21], v[16:17]
	v_mul_f64 v[20:21], v[18:19], v[16:17]
	v_mul_f64 v[22:23], v[14:15], v[20:21]
	v_fma_f64 v[14:15], v[20:21], v[14:15], -v[22:23]
	v_fmac_f64_e32 v[14:15], v[20:21], v[12:13]
	v_add_f64 v[12:13], v[22:23], v[14:15]
	v_add_f64 v[24:25], v[18:19], -v[12:13]
	v_add_f64 v[22:23], v[12:13], -v[22:23]
	;; [unrolled: 1-line block ×5, first 2 shown]
	v_add_f64 v[12:13], v[14:15], v[12:13]
	v_add_f64 v[12:13], v[24:25], v[12:13]
	v_mul_f64 v[12:13], v[16:17], v[12:13]
	v_add_f64 v[14:15], v[20:21], v[12:13]
	v_add_f64 v[16:17], v[14:15], -v[20:21]
	v_add_f64 v[12:13], v[12:13], -v[16:17]
	v_mul_f64 v[16:17], v[14:15], v[14:15]
	v_fma_f64 v[18:19], v[14:15], v[14:15], -v[16:17]
	v_add_f64 v[20:21], v[12:13], v[12:13]
	v_frexp_exp_i32_f64_e32 v11, v[8:9]
	v_fmac_f64_e32 v[18:19], v[14:15], v[20:21]
	v_subbrev_co_u32_e64 v1, s[0:1], 0, v11, s[0:1]
	v_add_f64 v[20:21], v[16:17], v[18:19]
	v_add_f64 v[16:17], v[20:21], -v[16:17]
	s_mov_b32 s0, 0x4222de17
	v_add_f64 v[16:17], v[18:19], -v[16:17]
	v_mov_b32_e32 v18, 0x968915a9
	v_mov_b32_e32 v19, 0x3fba6564
	s_mov_b32 s1, 0x3fbdee67
	v_fmac_f64_e32 v[18:19], s[0:1], v[20:21]
	v_mov_b32_e32 v22, 0x3abe935a
	v_mov_b32_e32 v23, 0x3fbe25e4
	v_fmac_f64_e32 v[22:23], v[20:21], v[18:19]
	v_mov_b32_e32 v18, 0x47e6c9c2
	v_mov_b32_e32 v19, 0x3fc110ef
	;; [unrolled: 3-line block ×7, first 2 shown]
	v_fmac_f64_e32 v[22:23], v[20:21], v[18:19]
	v_cvt_f64_i32_e32 v[18:19], v1
	s_mov_b32 s5, 0x3fe62e42
	s_mov_b32 s4, 0xfefa39ef
	v_mul_f64 v[24:25], v[18:19], s[4:5]
	v_mul_f64 v[30:31], v[14:15], v[20:21]
	v_fma_f64 v[26:27], v[18:19], s[4:5], -v[24:25]
	s_mov_b32 s11, 0x3c7abc9e
	s_mov_b32 s10, 0x3b39803f
	v_fma_f64 v[32:33], v[20:21], v[14:15], -v[30:31]
	v_fmac_f64_e32 v[26:27], s[10:11], v[18:19]
	v_fmac_f64_e32 v[32:33], v[20:21], v[12:13]
	v_add_f64 v[18:19], v[24:25], v[26:27]
	v_fmac_f64_e32 v[32:33], v[16:17], v[14:15]
	v_add_f64 v[24:25], v[18:19], -v[24:25]
	v_ldexp_f64 v[28:29], v[12:13], 1
	v_add_f64 v[12:13], v[30:31], v[32:33]
	v_add_f64 v[24:25], v[26:27], -v[24:25]
	v_ldexp_f64 v[26:27], v[14:15], 1
	v_add_f64 v[14:15], v[12:13], -v[30:31]
	v_mul_f64 v[30:31], v[20:21], v[22:23]
	v_fma_f64 v[20:21], v[20:21], v[22:23], -v[30:31]
	v_fmac_f64_e32 v[20:21], v[16:17], v[22:23]
	v_add_f64 v[16:17], v[30:31], v[20:21]
	v_add_f64 v[22:23], v[16:17], -v[30:31]
	v_add_f64 v[20:21], v[20:21], -v[22:23]
	v_add_f64 v[22:23], v[16:17], s[2:3]
	s_mov_b32 s3, 0xbfe55555
	s_mov_b32 s0, 0xd5df274d
	v_add_f64 v[30:31], v[22:23], s[2:3]
	s_mov_b32 s1, 0x3c8543b0
	v_add_f64 v[16:17], v[16:17], -v[30:31]
	v_add_f64 v[20:21], v[20:21], s[0:1]
	v_add_f64 v[16:17], v[20:21], v[16:17]
	;; [unrolled: 1-line block ×3, first 2 shown]
	v_add_f64 v[22:23], v[22:23], -v[20:21]
	v_add_f64 v[16:17], v[16:17], v[22:23]
	v_mul_f64 v[22:23], v[12:13], v[20:21]
	v_fma_f64 v[30:31], v[12:13], v[20:21], -v[22:23]
	v_add_f64 v[14:15], v[32:33], -v[14:15]
	v_fmac_f64_e32 v[30:31], v[12:13], v[16:17]
	v_fmac_f64_e32 v[30:31], v[14:15], v[20:21]
	v_add_f64 v[12:13], v[22:23], v[30:31]
	v_add_f64 v[14:15], v[12:13], -v[22:23]
	v_add_f64 v[16:17], v[26:27], v[12:13]
	v_add_f64 v[14:15], v[30:31], -v[14:15]
	v_add_f64 v[20:21], v[16:17], -v[26:27]
	;; [unrolled: 1-line block ×3, first 2 shown]
	v_add_f64 v[14:15], v[28:29], v[14:15]
	v_add_f64 v[12:13], v[14:15], v[12:13]
	;; [unrolled: 1-line block ×3, first 2 shown]
	v_add_f64 v[16:17], v[14:15], -v[16:17]
	v_add_f64 v[12:13], v[12:13], -v[16:17]
	v_add_f64 v[16:17], v[18:19], v[14:15]
	v_add_f64 v[20:21], v[16:17], -v[18:19]
	v_add_f64 v[22:23], v[16:17], -v[20:21]
	;; [unrolled: 1-line block ×4, first 2 shown]
	v_add_f64 v[14:15], v[14:15], v[18:19]
	v_add_f64 v[18:19], v[24:25], v[12:13]
	v_add_f64 v[20:21], v[18:19], -v[24:25]
	v_add_f64 v[14:15], v[18:19], v[14:15]
	v_add_f64 v[22:23], v[18:19], -v[20:21]
	;; [unrolled: 2-line block ×3, first 2 shown]
	v_add_f64 v[12:13], v[12:13], -v[20:21]
	v_add_f64 v[16:17], v[18:19], -v[16:17]
	v_add_f64 v[12:13], v[12:13], v[22:23]
	v_add_f64 v[14:15], v[14:15], -v[16:17]
	v_add_f64 v[12:13], v[12:13], v[14:15]
	v_add_f64 v[14:15], v[18:19], v[12:13]
	v_add_f64 v[16:17], v[14:15], -v[18:19]
	v_add_f64 v[12:13], v[12:13], -v[16:17]
	v_mul_f64 v[16:17], v[2:3], v[14:15]
	v_fma_f64 v[14:15], v[2:3], v[14:15], -v[16:17]
	v_fmac_f64_e32 v[14:15], v[2:3], v[12:13]
	s_movk_i32 s0, 0x204
	v_add_f64 v[12:13], v[16:17], v[14:15]
	v_cmp_class_f64_e64 s[0:1], v[16:17], s0
	s_mov_b32 s8, 0
	v_add_f64 v[18:19], v[12:13], -v[16:17]
	v_cndmask_b32_e64 v13, v13, v17, s[0:1]
	v_cndmask_b32_e64 v12, v12, v16, s[0:1]
	s_mov_b32 s9, 0x7ff00000
	v_add_f64 v[14:15], v[14:15], -v[18:19]
	v_cmp_neq_f64_e64 s[0:1], |v[12:13]|, s[8:9]
	v_cndmask_b32_e64 v15, 0, v15, s[0:1]
	v_cndmask_b32_e64 v14, 0, v14, s[0:1]
	s_mov_b32 s0, 0x652b82fe
	s_mov_b32 s1, 0x3ff71547
	v_mul_f64 v[16:17], v[12:13], s[0:1]
	v_rndne_f64_e32 v[16:17], v[16:17]
	s_mov_b32 s5, 0xbfe62e42
	v_fma_f64 v[18:19], s[4:5], v[16:17], v[12:13]
	s_mov_b32 s11, 0xbc7abc9e
	s_mov_b32 s0, 0x6a5dcb37
	v_fmac_f64_e32 v[18:19], s[10:11], v[16:17]
	v_mov_b32_e32 v20, 0xfca7ab0c
	v_mov_b32_e32 v21, 0x3e928af3
	s_mov_b32 s1, 0x3e5ade15
	v_fmac_f64_e32 v[20:21], s[0:1], v[18:19]
	v_mov_b32_e32 v22, 0x623fde64
	v_mov_b32_e32 v23, 0x3ec71dee
	v_fmac_f64_e32 v[22:23], v[18:19], v[20:21]
	v_mov_b32_e32 v20, 0x7c89e6b0
	v_mov_b32_e32 v21, 0x3efa0199
	;; [unrolled: 3-line block ×8, first 2 shown]
	v_fmac_f64_e32 v[20:21], v[18:19], v[22:23]
	v_fma_f64 v[20:21], v[18:19], v[20:21], 1.0
	s_mov_b32 s0, 0
	v_fma_f64 v[18:19], v[18:19], v[20:21], 1.0
	v_cvt_i32_f64_e32 v1, v[16:17]
	s_mov_b32 s1, 0x40900000
	s_mov_b32 s2, 0
	v_ldexp_f64 v[16:17], v[18:19], v1
	v_cmp_lt_f64_e64 s[0:1], s[0:1], v[12:13]
	v_mov_b32_e32 v11, 0x7ff00000
	s_mov_b32 s3, 0xc090cc00
	v_cndmask_b32_e64 v1, v16, 0, s[0:1]
	v_cndmask_b32_e64 v18, v17, v11, s[0:1]
	v_cmp_ngt_f64_e64 s[2:3], s[2:3], v[12:13]
	v_and_b32_e32 v17, 0x7fffffff, v17
	v_cndmask_b32_e64 v13, 0, v18, s[2:3]
	v_cndmask_b32_e64 v12, 0, v1, s[2:3]
	v_cmp_eq_f64_e64 s[4:5], s[8:9], v[16:17]
	v_pk_mov_b32 v[18:19], v[12:13], v[12:13] op_sel:[0,1]
	s_or_b64 s[0:1], s[0:1], s[4:5]
	v_fmac_f64_e32 v[18:19], v[18:19], v[14:15]
	s_and_b64 s[0:1], s[2:3], s[0:1]
	v_mul_f64 v[14:15], v[2:3], 0.5
	v_cndmask_b32_e64 v1, v18, v12, s[0:1]
	v_cndmask_b32_e64 v18, v19, v13, s[0:1]
	v_trunc_f64_e32 v[12:13], v[2:3]
	v_trunc_f64_e32 v[16:17], v[14:15]
	v_cmp_neq_f64_e64 s[0:1], v[16:17], v[14:15]
	v_cmp_eq_f64_e64 s[2:3], v[12:13], v[2:3]
	s_and_b64 s[0:1], s[2:3], s[0:1]
	s_brev_b32 s14, -2
	v_cndmask_b32_e64 v13, v10, v5, s[0:1]
	v_bfi_b32 v13, s14, v18, v13
	v_mov_b32_e32 v14, 0x7ff80000
	v_and_b32_e32 v7, 0x7fffffff, v7
	v_cndmask_b32_e64 v12, 0, v1, s[2:3]
	v_cndmask_b32_e64 v15, v14, v13, s[2:3]
	v_cmp_gt_f64_e64 s[2:3], 0, v[4:5]
	v_cndmask_b32_e32 v7, v7, v10, vcc
	v_cndmask_b32_e64 v6, v6, 0, vcc
	v_cndmask_b32_e64 v13, v13, v15, s[2:3]
	v_cndmask_b32_e64 v1, v1, v12, s[2:3]
	v_cmp_neq_f64_e32 vcc, v[2:3], v[6:7]
	v_cmp_gt_f64_e64 s[2:3], 1.0, v[8:9]
	s_xor_b64 s[2:3], vcc, s[2:3]
	v_cndmask_b32_e64 v10, v6, 0, s[2:3]
	v_cndmask_b32_e64 v12, v7, 0, s[2:3]
	v_cmp_eq_f64_e32 vcc, 1.0, v[8:9]
	v_cmp_eq_f64_e64 s[2:3], 0, v[4:5]
	v_cmp_gt_f64_e64 s[4:5], 0, v[2:3]
	v_cndmask_b32_e32 v12, v12, v9, vcc
	v_cndmask_b32_e32 v10, v10, v8, vcc
	v_cmp_eq_f64_e32 vcc, s[8:9], v[6:7]
	s_xor_b64 s[4:5], s[4:5], s[2:3]
	v_cndmask_b32_e32 v1, v1, v10, vcc
	v_cndmask_b32_e32 v6, v13, v12, vcc
	v_cmp_eq_f64_e32 vcc, s[8:9], v[8:9]
	v_cndmask_b32_e64 v7, v11, 0, s[4:5]
	v_cndmask_b32_e64 v8, 0, v5, s[0:1]
	v_bfi_b32 v7, s14, v7, v8
	s_or_b64 vcc, vcc, s[2:3]
	s_lshl_b64 s[0:1], s[6:7], 3
	v_cndmask_b32_e32 v6, v6, v7, vcc
	v_cndmask_b32_e64 v1, v1, 0, vcc
	v_cmp_o_f64_e32 vcc, v[4:5], v[2:3]
	s_add_u32 s0, s12, s0
	v_cndmask_b32_e32 v2, 0, v1, vcc
	v_cndmask_b32_e32 v3, v14, v6, vcc
	s_addc_u32 s1, s13, s1
	global_store_dwordx2 v0, v[2:3], s[0:1]
	s_endpgm
	.section	.rodata,"a",@progbits
	.p2align	6, 0x0
	.amdhsa_kernel _ZN2at6native12_GLOBAL__N_122pdist_kernel_cuda_implIdNS1_5distsIdE1pEEEvPT_PKS6_llS6_dd
		.amdhsa_group_segment_fixed_size 2048
		.amdhsa_private_segment_fixed_size 0
		.amdhsa_kernarg_size 312
		.amdhsa_user_sgpr_count 6
		.amdhsa_user_sgpr_private_segment_buffer 1
		.amdhsa_user_sgpr_dispatch_ptr 0
		.amdhsa_user_sgpr_queue_ptr 0
		.amdhsa_user_sgpr_kernarg_segment_ptr 1
		.amdhsa_user_sgpr_dispatch_id 0
		.amdhsa_user_sgpr_flat_scratch_init 0
		.amdhsa_user_sgpr_kernarg_preload_length 0
		.amdhsa_user_sgpr_kernarg_preload_offset 0
		.amdhsa_user_sgpr_private_segment_size 0
		.amdhsa_uses_dynamic_stack 0
		.amdhsa_system_sgpr_private_segment_wavefront_offset 0
		.amdhsa_system_sgpr_workgroup_id_x 1
		.amdhsa_system_sgpr_workgroup_id_y 0
		.amdhsa_system_sgpr_workgroup_id_z 0
		.amdhsa_system_sgpr_workgroup_info 0
		.amdhsa_system_vgpr_workitem_id 0
		.amdhsa_next_free_vgpr 76
		.amdhsa_next_free_sgpr 53
		.amdhsa_accum_offset 76
		.amdhsa_reserve_vcc 1
		.amdhsa_reserve_flat_scratch 0
		.amdhsa_float_round_mode_32 0
		.amdhsa_float_round_mode_16_64 0
		.amdhsa_float_denorm_mode_32 3
		.amdhsa_float_denorm_mode_16_64 3
		.amdhsa_dx10_clamp 1
		.amdhsa_ieee_mode 1
		.amdhsa_fp16_overflow 0
		.amdhsa_tg_split 0
		.amdhsa_exception_fp_ieee_invalid_op 0
		.amdhsa_exception_fp_denorm_src 0
		.amdhsa_exception_fp_ieee_div_zero 0
		.amdhsa_exception_fp_ieee_overflow 0
		.amdhsa_exception_fp_ieee_underflow 0
		.amdhsa_exception_fp_ieee_inexact 0
		.amdhsa_exception_int_div_zero 0
	.end_amdhsa_kernel
	.section	.text._ZN2at6native12_GLOBAL__N_122pdist_kernel_cuda_implIdNS1_5distsIdE1pEEEvPT_PKS6_llS6_dd,"axG",@progbits,_ZN2at6native12_GLOBAL__N_122pdist_kernel_cuda_implIdNS1_5distsIdE1pEEEvPT_PKS6_llS6_dd,comdat
.Lfunc_end10:
	.size	_ZN2at6native12_GLOBAL__N_122pdist_kernel_cuda_implIdNS1_5distsIdE1pEEEvPT_PKS6_llS6_dd, .Lfunc_end10-_ZN2at6native12_GLOBAL__N_122pdist_kernel_cuda_implIdNS1_5distsIdE1pEEEvPT_PKS6_llS6_dd
                                        ; -- End function
	.section	.AMDGPU.csdata,"",@progbits
; Kernel info:
; codeLenInByte = 5176
; NumSgprs: 57
; NumVgprs: 76
; NumAgprs: 0
; TotalNumVgprs: 76
; ScratchSize: 0
; MemoryBound: 0
; FloatMode: 240
; IeeeMode: 1
; LDSByteSize: 2048 bytes/workgroup (compile time only)
; SGPRBlocks: 7
; VGPRBlocks: 9
; NumSGPRsForWavesPerEU: 57
; NumVGPRsForWavesPerEU: 76
; AccumOffset: 76
; Occupancy: 6
; WaveLimiterHint : 0
; COMPUTE_PGM_RSRC2:SCRATCH_EN: 0
; COMPUTE_PGM_RSRC2:USER_SGPR: 6
; COMPUTE_PGM_RSRC2:TRAP_HANDLER: 0
; COMPUTE_PGM_RSRC2:TGID_X_EN: 1
; COMPUTE_PGM_RSRC2:TGID_Y_EN: 0
; COMPUTE_PGM_RSRC2:TGID_Z_EN: 0
; COMPUTE_PGM_RSRC2:TIDIG_COMP_CNT: 0
; COMPUTE_PGM_RSRC3_GFX90A:ACCUM_OFFSET: 18
; COMPUTE_PGM_RSRC3_GFX90A:TG_SPLIT: 0
	.section	.text._ZN2at6native12_GLOBAL__N_122pdist_kernel_cuda_implIdNS1_5distsIdE4zeroEEEvPT_PKS6_llS6_dd,"axG",@progbits,_ZN2at6native12_GLOBAL__N_122pdist_kernel_cuda_implIdNS1_5distsIdE4zeroEEEvPT_PKS6_llS6_dd,comdat
	.globl	_ZN2at6native12_GLOBAL__N_122pdist_kernel_cuda_implIdNS1_5distsIdE4zeroEEEvPT_PKS6_llS6_dd ; -- Begin function _ZN2at6native12_GLOBAL__N_122pdist_kernel_cuda_implIdNS1_5distsIdE4zeroEEEvPT_PKS6_llS6_dd
	.p2align	8
	.type	_ZN2at6native12_GLOBAL__N_122pdist_kernel_cuda_implIdNS1_5distsIdE4zeroEEEvPT_PKS6_llS6_dd,@function
_ZN2at6native12_GLOBAL__N_122pdist_kernel_cuda_implIdNS1_5distsIdE4zeroEEEvPT_PKS6_llS6_dd: ; @_ZN2at6native12_GLOBAL__N_122pdist_kernel_cuda_implIdNS1_5distsIdE4zeroEEEvPT_PKS6_llS6_dd
; %bb.0:
	s_load_dword s0, s[4:5], 0x44
	s_load_dwordx8 s[8:15], s[4:5], 0x0
	v_mov_b32_e32 v1, 0
	s_mov_b32 s7, 0
	v_pk_mov_b32 v[10:11], 0, 0
	s_waitcnt lgkmcnt(0)
	s_and_b32 s16, s0, 0xffff
	v_cmp_gt_i64_e32 vcc, s[14:15], v[0:1]
	s_and_saveexec_b64 s[0:1], vcc
	s_cbranch_execz .LBB11_8
; %bb.1:
	s_load_dwordx4 s[20:23], s[4:5], 0x28
	s_lshl_b64 s[2:3], s[6:7], 1
	v_cvt_f64_u32_e32 v[2:3], s3
	v_ldexp_f64 v[2:3], v[2:3], 32
	v_cvt_f64_u32_e32 v[4:5], s2
	v_add_f64 v[2:3], v[2:3], v[4:5]
	s_mov_b32 s2, 0
	s_waitcnt lgkmcnt(0)
	v_add_f64 v[2:3], s[22:23], -v[2:3]
	s_brev_b32 s3, 8
	v_cmp_gt_f64_e32 vcc, s[2:3], v[2:3]
	v_cndmask_b32_e64 v1, 0, 1, vcc
	v_lshlrev_b32_e32 v1, 8, v1
	v_ldexp_f64 v[2:3], v[2:3], v1
	v_rsq_f64_e32 v[4:5], v[2:3]
	s_and_b64 s[2:3], vcc, exec
	s_cselect_b32 s2, 0xffffff80, 0
	v_mov_b32_e32 v1, 0x260
	v_mul_f64 v[6:7], v[2:3], v[4:5]
	v_mul_f64 v[4:5], v[4:5], 0.5
	v_fma_f64 v[8:9], -v[4:5], v[6:7], 0.5
	v_fmac_f64_e32 v[6:7], v[6:7], v[8:9]
	v_fma_f64 v[10:11], -v[6:7], v[6:7], v[2:3]
	v_fmac_f64_e32 v[4:5], v[4:5], v[8:9]
	v_fmac_f64_e32 v[6:7], v[10:11], v[4:5]
	v_fma_f64 v[8:9], -v[6:7], v[6:7], v[2:3]
	v_fmac_f64_e32 v[6:7], v[8:9], v[4:5]
	v_ldexp_f64 v[4:5], v[6:7], s2
	v_cmp_class_f64_e32 vcc, v[2:3], v1
	v_cndmask_b32_e32 v3, v5, v3, vcc
	v_cndmask_b32_e32 v2, v4, v2, vcc
	v_add_f64 v[2:3], s[20:21], -v[2:3]
	v_trunc_f64_e32 v[2:3], v[2:3]
	s_movk_i32 s2, 0xffe0
	v_ldexp_f64 v[4:5], v[2:3], s2
	v_floor_f64_e32 v[4:5], v[4:5]
	v_fmac_f64_e32 v[2:3], 0xc1f00000, v[4:5]
	v_cvt_u32_f64_e32 v1, v[2:3]
	v_cvt_i32_f64_e32 v2, v[4:5]
	v_mul_lo_u32 v3, v1, s15
	v_mul_hi_u32 v4, v1, s14
	v_readfirstlane_b32 s5, v2
	v_add_u32_e32 v3, v4, v3
	v_mul_lo_u32 v2, v2, s14
	v_add_u32_e32 v3, v3, v2
	v_mul_lo_u32 v2, v1, s14
	v_lshlrev_b64 v[2:3], 3, v[2:3]
	v_readfirstlane_b32 s4, v1
	v_mov_b32_e32 v1, s11
	v_add_co_u32_e32 v6, vcc, s10, v2
	v_addc_co_u32_e32 v1, vcc, v1, v3, vcc
	s_lshl_b64 s[2:3], s[14:15], 3
	v_add_co_u32_e32 v4, vcc, s2, v6
	s_add_u32 s2, s4, 1
	v_mov_b32_e32 v5, s3
	s_addc_u32 s3, s5, 0
	s_add_u32 s17, s2, s6
	s_mul_i32 s13, s4, s13
	s_mul_hi_u32 s19, s4, s12
	s_addc_u32 s18, s3, 0
	s_add_i32 s13, s19, s13
	s_mul_i32 s19, s5, s12
	s_add_i32 s13, s13, s19
	s_mul_i32 s12, s4, s12
	s_sub_u32 s12, s17, s12
	s_mul_hi_u32 s17, s2, s4
	s_mul_i32 s5, s2, s5
	s_subb_u32 s13, s18, s13
	s_mul_i32 s3, s3, s4
	s_add_i32 s5, s17, s5
	s_add_i32 s5, s5, s3
	s_mul_i32 s2, s2, s4
	s_lshr_b32 s3, s5, 31
	s_add_u32 s2, s2, s3
	s_addc_u32 s3, s5, 0
	s_ashr_i64 s[2:3], s[2:3], 1
	s_add_u32 s2, s12, s2
	s_addc_u32 s3, s13, s3
	v_addc_co_u32_e32 v5, vcc, v1, v5, vcc
	v_lshlrev_b32_e32 v8, 3, v0
	s_mul_i32 s3, s14, s3
	s_mul_hi_u32 s4, s14, s2
	v_add_co_u32_e32 v6, vcc, v6, v8
	s_add_i32 s3, s4, s3
	s_mul_i32 s4, s15, s2
	v_addc_co_u32_e32 v7, vcc, 0, v1, vcc
	s_add_i32 s3, s3, s4
	s_mul_i32 s2, s14, s2
	s_lshl_b64 s[2:3], s[2:3], 3
	v_mov_b32_e32 v1, s11
	v_add_co_u32_e32 v8, vcc, s10, v8
	v_addc_co_u32_e32 v1, vcc, 0, v1, vcc
	s_lshl_b32 s14, s16, 3
	s_mov_b32 s15, s7
	s_mov_b64 s[4:5], 0
	v_pk_mov_b32 v[12:13], 0, 0
	v_mov_b32_e32 v9, s3
	s_lshl_b32 s3, s16, 3
	s_branch .LBB11_4
.LBB11_2:                               ;   in Loop: Header=BB11_4 Depth=1
	s_or_b64 exec, exec, s[12:13]
	v_pk_mov_b32 v[10:11], v[12:13], v[12:13] op_sel:[0,1]
.LBB11_3:                               ;   in Loop: Header=BB11_4 Depth=1
	s_or_b64 exec, exec, s[10:11]
	v_add_co_u32_e32 v6, vcc, s3, v6
	v_addc_co_u32_e32 v7, vcc, 0, v7, vcc
	v_mov_b32_e32 v12, s15
	v_add_co_u32_e32 v8, vcc, s14, v8
	v_addc_co_u32_e32 v1, vcc, v1, v12, vcc
	v_cmp_ge_u64_e32 vcc, v[6:7], v[4:5]
	s_or_b64 s[4:5], vcc, s[4:5]
	v_pk_mov_b32 v[12:13], v[10:11], v[10:11] op_sel:[0,1]
	s_andn2_b64 exec, exec, s[4:5]
	s_cbranch_execz .LBB11_7
.LBB11_4:                               ; =>This Inner Loop Header: Depth=1
	v_add_co_u32_e32 v10, vcc, s2, v8
	v_addc_co_u32_e32 v11, vcc, v1, v9, vcc
	v_add_co_u32_e32 v14, vcc, v8, v2
	v_addc_co_u32_e32 v15, vcc, v1, v3, vcc
	global_load_dwordx2 v[16:17], v[14:15], off
	global_load_dwordx2 v[18:19], v[10:11], off
	s_waitcnt vmcnt(0)
	v_add_f64 v[14:15], v[16:17], -v[18:19]
	v_and_b32_e32 v11, 0x7fffffff, v15
	v_mov_b32_e32 v10, v14
	v_cmp_o_f64_e32 vcc, v[14:15], v[14:15]
	s_and_saveexec_b64 s[10:11], vcc
	s_cbranch_execz .LBB11_3
; %bb.5:                                ;   in Loop: Header=BB11_4 Depth=1
	v_cmp_neq_f64_e32 vcc, 0, v[14:15]
	s_and_saveexec_b64 s[12:13], vcc
	s_cbranch_execz .LBB11_2
; %bb.6:                                ;   in Loop: Header=BB11_4 Depth=1
	v_add_f64 v[12:13], v[12:13], 1.0
	s_branch .LBB11_2
.LBB11_7:
	s_or_b64 exec, exec, s[4:5]
.LBB11_8:
	s_or_b64 exec, exec, s[0:1]
	v_mbcnt_lo_u32_b32 v1, -1, 0
	v_mbcnt_hi_u32_b32 v12, -1, v1
	v_and_b32_e32 v13, 63, v12
	v_cmp_gt_u32_e32 vcc, 32, v13
	v_cndmask_b32_e64 v1, 0, 1, vcc
	v_lshlrev_b32_e32 v1, 5, v1
	v_add_lshl_u32 v1, v1, v12, 2
	ds_bpermute_b32 v2, v1, v10
	ds_bpermute_b32 v3, v1, v11
	v_cmp_gt_u32_e32 vcc, 48, v13
	v_cndmask_b32_e64 v4, 0, 1, vcc
	v_lshlrev_b32_e32 v4, 4, v4
	v_add_lshl_u32 v6, v4, v12, 2
	s_waitcnt lgkmcnt(0)
	v_add_f64 v[2:3], v[10:11], v[2:3]
	ds_bpermute_b32 v4, v6, v2
	ds_bpermute_b32 v5, v6, v3
	v_cmp_gt_u32_e32 vcc, 56, v13
	v_and_b32_e32 v11, 63, v0
	s_waitcnt lgkmcnt(0)
	s_barrier
	v_add_f64 v[2:3], v[2:3], v[4:5]
	v_cndmask_b32_e64 v4, 0, 1, vcc
	v_lshlrev_b32_e32 v4, 3, v4
	v_add_lshl_u32 v7, v4, v12, 2
	ds_bpermute_b32 v4, v7, v2
	ds_bpermute_b32 v5, v7, v3
	v_cmp_gt_u32_e32 vcc, 60, v13
	s_waitcnt lgkmcnt(0)
	v_add_f64 v[2:3], v[2:3], v[4:5]
	v_cndmask_b32_e64 v4, 0, 1, vcc
	v_lshlrev_b32_e32 v4, 2, v4
	v_add_lshl_u32 v8, v4, v12, 2
	ds_bpermute_b32 v4, v8, v2
	ds_bpermute_b32 v5, v8, v3
	v_cmp_gt_u32_e32 vcc, 62, v13
	s_waitcnt lgkmcnt(0)
	v_add_f64 v[2:3], v[2:3], v[4:5]
	v_cndmask_b32_e64 v4, 0, 1, vcc
	v_lshlrev_b32_e32 v4, 1, v4
	v_add_lshl_u32 v9, v4, v12, 2
	ds_bpermute_b32 v4, v9, v2
	ds_bpermute_b32 v5, v9, v3
	v_cmp_ne_u32_e32 vcc, 63, v13
	s_waitcnt lgkmcnt(0)
	v_add_f64 v[2:3], v[2:3], v[4:5]
	v_addc_co_u32_e32 v4, vcc, 0, v12, vcc
	v_lshlrev_b32_e32 v10, 2, v4
	ds_bpermute_b32 v4, v10, v2
	ds_bpermute_b32 v5, v10, v3
	v_cmp_eq_u32_e32 vcc, 0, v11
	s_and_saveexec_b64 s[0:1], vcc
	s_cbranch_execz .LBB11_10
; %bb.9:
	v_lshrrev_b32_e32 v12, 3, v0
	s_waitcnt lgkmcnt(0)
	v_add_f64 v[2:3], v[2:3], v[4:5]
	ds_write_b64 v12, v[2:3]
.LBB11_10:
	s_or_b64 exec, exec, s[0:1]
	s_lshr_b32 s0, s16, 6
	v_cmp_gt_u32_e32 vcc, s0, v0
	v_pk_mov_b32 v[2:3], 0, 0
	s_waitcnt lgkmcnt(0)
	s_barrier
	s_and_saveexec_b64 s[0:1], vcc
	s_cbranch_execnz .LBB11_14
; %bb.11:
	s_or_b64 exec, exec, s[0:1]
	v_cmp_gt_u32_e32 vcc, 64, v0
	s_and_saveexec_b64 s[0:1], vcc
	s_cbranch_execnz .LBB11_15
.LBB11_12:
	s_or_b64 exec, exec, s[0:1]
	v_cmp_eq_u32_e32 vcc, 0, v0
	s_and_saveexec_b64 s[0:1], vcc
	s_cbranch_execnz .LBB11_16
.LBB11_13:
	s_endpgm
.LBB11_14:
	v_lshlrev_b32_e32 v2, 3, v11
	ds_read_b64 v[2:3], v2
	s_or_b64 exec, exec, s[0:1]
	v_cmp_gt_u32_e32 vcc, 64, v0
	s_and_saveexec_b64 s[0:1], vcc
	s_cbranch_execz .LBB11_12
.LBB11_15:
	s_waitcnt lgkmcnt(0)
	ds_bpermute_b32 v4, v1, v2
	ds_bpermute_b32 v5, v1, v3
	s_waitcnt lgkmcnt(0)
	v_add_f64 v[2:3], v[2:3], v[4:5]
	ds_bpermute_b32 v4, v6, v2
	ds_bpermute_b32 v5, v6, v3
	s_waitcnt lgkmcnt(0)
	v_add_f64 v[2:3], v[2:3], v[4:5]
	;; [unrolled: 4-line block ×6, first 2 shown]
	s_or_b64 exec, exec, s[0:1]
	v_cmp_eq_u32_e32 vcc, 0, v0
	s_and_saveexec_b64 s[0:1], vcc
	s_cbranch_execz .LBB11_13
.LBB11_16:
	s_lshl_b64 s[0:1], s[6:7], 3
	s_add_u32 s0, s8, s0
	s_addc_u32 s1, s9, s1
	v_mov_b32_e32 v0, 0
	s_waitcnt lgkmcnt(0)
	global_store_dwordx2 v0, v[2:3], s[0:1]
	s_endpgm
	.section	.rodata,"a",@progbits
	.p2align	6, 0x0
	.amdhsa_kernel _ZN2at6native12_GLOBAL__N_122pdist_kernel_cuda_implIdNS1_5distsIdE4zeroEEEvPT_PKS6_llS6_dd
		.amdhsa_group_segment_fixed_size 2048
		.amdhsa_private_segment_fixed_size 0
		.amdhsa_kernarg_size 312
		.amdhsa_user_sgpr_count 6
		.amdhsa_user_sgpr_private_segment_buffer 1
		.amdhsa_user_sgpr_dispatch_ptr 0
		.amdhsa_user_sgpr_queue_ptr 0
		.amdhsa_user_sgpr_kernarg_segment_ptr 1
		.amdhsa_user_sgpr_dispatch_id 0
		.amdhsa_user_sgpr_flat_scratch_init 0
		.amdhsa_user_sgpr_kernarg_preload_length 0
		.amdhsa_user_sgpr_kernarg_preload_offset 0
		.amdhsa_user_sgpr_private_segment_size 0
		.amdhsa_uses_dynamic_stack 0
		.amdhsa_system_sgpr_private_segment_wavefront_offset 0
		.amdhsa_system_sgpr_workgroup_id_x 1
		.amdhsa_system_sgpr_workgroup_id_y 0
		.amdhsa_system_sgpr_workgroup_id_z 0
		.amdhsa_system_sgpr_workgroup_info 0
		.amdhsa_system_vgpr_workitem_id 0
		.amdhsa_next_free_vgpr 20
		.amdhsa_next_free_sgpr 24
		.amdhsa_accum_offset 20
		.amdhsa_reserve_vcc 1
		.amdhsa_reserve_flat_scratch 0
		.amdhsa_float_round_mode_32 0
		.amdhsa_float_round_mode_16_64 0
		.amdhsa_float_denorm_mode_32 3
		.amdhsa_float_denorm_mode_16_64 3
		.amdhsa_dx10_clamp 1
		.amdhsa_ieee_mode 1
		.amdhsa_fp16_overflow 0
		.amdhsa_tg_split 0
		.amdhsa_exception_fp_ieee_invalid_op 0
		.amdhsa_exception_fp_denorm_src 0
		.amdhsa_exception_fp_ieee_div_zero 0
		.amdhsa_exception_fp_ieee_overflow 0
		.amdhsa_exception_fp_ieee_underflow 0
		.amdhsa_exception_fp_ieee_inexact 0
		.amdhsa_exception_int_div_zero 0
	.end_amdhsa_kernel
	.section	.text._ZN2at6native12_GLOBAL__N_122pdist_kernel_cuda_implIdNS1_5distsIdE4zeroEEEvPT_PKS6_llS6_dd,"axG",@progbits,_ZN2at6native12_GLOBAL__N_122pdist_kernel_cuda_implIdNS1_5distsIdE4zeroEEEvPT_PKS6_llS6_dd,comdat
.Lfunc_end11:
	.size	_ZN2at6native12_GLOBAL__N_122pdist_kernel_cuda_implIdNS1_5distsIdE4zeroEEEvPT_PKS6_llS6_dd, .Lfunc_end11-_ZN2at6native12_GLOBAL__N_122pdist_kernel_cuda_implIdNS1_5distsIdE4zeroEEEvPT_PKS6_llS6_dd
                                        ; -- End function
	.section	.AMDGPU.csdata,"",@progbits
; Kernel info:
; codeLenInByte = 1376
; NumSgprs: 28
; NumVgprs: 20
; NumAgprs: 0
; TotalNumVgprs: 20
; ScratchSize: 0
; MemoryBound: 0
; FloatMode: 240
; IeeeMode: 1
; LDSByteSize: 2048 bytes/workgroup (compile time only)
; SGPRBlocks: 3
; VGPRBlocks: 2
; NumSGPRsForWavesPerEU: 28
; NumVGPRsForWavesPerEU: 20
; AccumOffset: 20
; Occupancy: 8
; WaveLimiterHint : 0
; COMPUTE_PGM_RSRC2:SCRATCH_EN: 0
; COMPUTE_PGM_RSRC2:USER_SGPR: 6
; COMPUTE_PGM_RSRC2:TRAP_HANDLER: 0
; COMPUTE_PGM_RSRC2:TGID_X_EN: 1
; COMPUTE_PGM_RSRC2:TGID_Y_EN: 0
; COMPUTE_PGM_RSRC2:TGID_Z_EN: 0
; COMPUTE_PGM_RSRC2:TIDIG_COMP_CNT: 0
; COMPUTE_PGM_RSRC3_GFX90A:ACCUM_OFFSET: 4
; COMPUTE_PGM_RSRC3_GFX90A:TG_SPLIT: 0
	.section	.text._ZN2at6native12_GLOBAL__N_122pdist_kernel_cuda_implIdNS1_5distsIdE3oneEEEvPT_PKS6_llS6_dd,"axG",@progbits,_ZN2at6native12_GLOBAL__N_122pdist_kernel_cuda_implIdNS1_5distsIdE3oneEEEvPT_PKS6_llS6_dd,comdat
	.globl	_ZN2at6native12_GLOBAL__N_122pdist_kernel_cuda_implIdNS1_5distsIdE3oneEEEvPT_PKS6_llS6_dd ; -- Begin function _ZN2at6native12_GLOBAL__N_122pdist_kernel_cuda_implIdNS1_5distsIdE3oneEEEvPT_PKS6_llS6_dd
	.p2align	8
	.type	_ZN2at6native12_GLOBAL__N_122pdist_kernel_cuda_implIdNS1_5distsIdE3oneEEEvPT_PKS6_llS6_dd,@function
_ZN2at6native12_GLOBAL__N_122pdist_kernel_cuda_implIdNS1_5distsIdE3oneEEEvPT_PKS6_llS6_dd: ; @_ZN2at6native12_GLOBAL__N_122pdist_kernel_cuda_implIdNS1_5distsIdE3oneEEEvPT_PKS6_llS6_dd
; %bb.0:
	s_load_dword s0, s[4:5], 0x44
	s_load_dwordx8 s[8:15], s[4:5], 0x0
	v_mov_b32_e32 v1, 0
	s_mov_b32 s7, 0
	v_pk_mov_b32 v[8:9], 0, 0
	s_waitcnt lgkmcnt(0)
	s_and_b32 s16, s0, 0xffff
	v_cmp_gt_i64_e32 vcc, s[14:15], v[0:1]
	s_and_saveexec_b64 s[0:1], vcc
	s_cbranch_execz .LBB12_4
; %bb.1:
	s_load_dwordx4 s[20:23], s[4:5], 0x28
	s_lshl_b64 s[2:3], s[6:7], 1
	v_cvt_f64_u32_e32 v[2:3], s3
	v_ldexp_f64 v[2:3], v[2:3], 32
	v_cvt_f64_u32_e32 v[4:5], s2
	v_add_f64 v[2:3], v[2:3], v[4:5]
	s_mov_b32 s2, 0
	s_waitcnt lgkmcnt(0)
	v_add_f64 v[2:3], s[22:23], -v[2:3]
	s_brev_b32 s3, 8
	v_cmp_gt_f64_e32 vcc, s[2:3], v[2:3]
	v_cndmask_b32_e64 v1, 0, 1, vcc
	v_lshlrev_b32_e32 v1, 8, v1
	v_ldexp_f64 v[2:3], v[2:3], v1
	v_rsq_f64_e32 v[4:5], v[2:3]
	s_and_b64 s[2:3], vcc, exec
	s_cselect_b32 s2, 0xffffff80, 0
	v_mov_b32_e32 v1, 0x260
	v_mul_f64 v[6:7], v[2:3], v[4:5]
	v_mul_f64 v[4:5], v[4:5], 0.5
	v_fma_f64 v[8:9], -v[4:5], v[6:7], 0.5
	v_fmac_f64_e32 v[6:7], v[6:7], v[8:9]
	v_fma_f64 v[10:11], -v[6:7], v[6:7], v[2:3]
	v_fmac_f64_e32 v[4:5], v[4:5], v[8:9]
	v_fmac_f64_e32 v[6:7], v[10:11], v[4:5]
	v_fma_f64 v[8:9], -v[6:7], v[6:7], v[2:3]
	v_fmac_f64_e32 v[6:7], v[8:9], v[4:5]
	v_ldexp_f64 v[4:5], v[6:7], s2
	v_cmp_class_f64_e32 vcc, v[2:3], v1
	v_cndmask_b32_e32 v3, v5, v3, vcc
	v_cndmask_b32_e32 v2, v4, v2, vcc
	v_add_f64 v[2:3], s[20:21], -v[2:3]
	v_trunc_f64_e32 v[2:3], v[2:3]
	s_movk_i32 s2, 0xffe0
	v_ldexp_f64 v[4:5], v[2:3], s2
	v_floor_f64_e32 v[4:5], v[4:5]
	v_fmac_f64_e32 v[2:3], 0xc1f00000, v[4:5]
	v_cvt_u32_f64_e32 v1, v[2:3]
	v_cvt_i32_f64_e32 v2, v[4:5]
	v_mul_lo_u32 v3, v1, s15
	v_mul_hi_u32 v4, v1, s14
	v_readfirstlane_b32 s5, v2
	v_add_u32_e32 v3, v4, v3
	v_mul_lo_u32 v2, v2, s14
	v_add_u32_e32 v3, v3, v2
	v_mul_lo_u32 v2, v1, s14
	v_lshlrev_b64 v[2:3], 3, v[2:3]
	v_readfirstlane_b32 s4, v1
	v_mov_b32_e32 v1, s11
	v_add_co_u32_e32 v6, vcc, s10, v2
	v_addc_co_u32_e32 v1, vcc, v1, v3, vcc
	s_lshl_b64 s[2:3], s[14:15], 3
	v_add_co_u32_e32 v4, vcc, s2, v6
	s_add_u32 s2, s4, 1
	v_mov_b32_e32 v5, s3
	s_addc_u32 s3, s5, 0
	s_add_u32 s17, s2, s6
	s_mul_i32 s13, s4, s13
	s_mul_hi_u32 s19, s4, s12
	s_addc_u32 s18, s3, 0
	s_add_i32 s13, s19, s13
	s_mul_i32 s19, s5, s12
	s_add_i32 s13, s13, s19
	s_mul_i32 s12, s4, s12
	s_sub_u32 s12, s17, s12
	s_mul_hi_u32 s17, s2, s4
	s_mul_i32 s5, s2, s5
	s_subb_u32 s13, s18, s13
	s_mul_i32 s3, s3, s4
	s_add_i32 s5, s17, s5
	s_add_i32 s5, s5, s3
	s_mul_i32 s2, s2, s4
	s_lshr_b32 s3, s5, 31
	s_add_u32 s2, s2, s3
	s_addc_u32 s3, s5, 0
	s_ashr_i64 s[2:3], s[2:3], 1
	s_add_u32 s2, s12, s2
	s_addc_u32 s3, s13, s3
	v_addc_co_u32_e32 v5, vcc, v1, v5, vcc
	v_lshlrev_b32_e32 v8, 3, v0
	s_mul_i32 s3, s14, s3
	s_mul_hi_u32 s4, s14, s2
	v_add_co_u32_e32 v6, vcc, v6, v8
	s_add_i32 s3, s4, s3
	s_mul_i32 s4, s15, s2
	v_addc_co_u32_e32 v7, vcc, 0, v1, vcc
	s_add_i32 s3, s3, s4
	s_mul_i32 s2, s14, s2
	s_lshl_b64 s[2:3], s[2:3], 3
	v_mov_b32_e32 v1, s11
	v_add_co_u32_e32 v10, vcc, s10, v8
	v_addc_co_u32_e32 v1, vcc, 0, v1, vcc
	s_lshl_b32 s10, s16, 3
	s_mov_b64 s[4:5], 0
	v_pk_mov_b32 v[8:9], 0, 0
	v_mov_b32_e32 v11, s3
	s_lshl_b32 s3, s16, 3
	v_mov_b32_e32 v12, s7
	s_mov_b32 s11, s7
.LBB12_2:                               ; =>This Inner Loop Header: Depth=1
	v_add_co_u32_e32 v14, vcc, s2, v10
	v_addc_co_u32_e32 v15, vcc, v1, v11, vcc
	v_add_co_u32_e32 v16, vcc, v10, v2
	v_addc_co_u32_e32 v17, vcc, v1, v3, vcc
	global_load_dwordx2 v[18:19], v[16:17], off
	global_load_dwordx2 v[20:21], v[14:15], off
	v_add_co_u32_e32 v6, vcc, s3, v6
	v_addc_co_u32_e32 v7, vcc, 0, v7, vcc
	v_add_co_u32_e32 v10, vcc, s10, v10
	v_addc_co_u32_e32 v1, vcc, v1, v12, vcc
	v_cmp_ge_u64_e32 vcc, v[6:7], v[4:5]
	s_or_b64 s[4:5], vcc, s[4:5]
	s_waitcnt vmcnt(0)
	v_add_f64 v[14:15], v[18:19], -v[20:21]
	v_add_f64 v[8:9], v[8:9], |v[14:15]|
	s_andn2_b64 exec, exec, s[4:5]
	s_cbranch_execnz .LBB12_2
; %bb.3:
	s_or_b64 exec, exec, s[4:5]
.LBB12_4:
	s_or_b64 exec, exec, s[0:1]
	v_mbcnt_lo_u32_b32 v1, -1, 0
	v_mbcnt_hi_u32_b32 v10, -1, v1
	v_and_b32_e32 v12, 63, v10
	v_cmp_gt_u32_e32 vcc, 32, v12
	v_cndmask_b32_e64 v1, 0, 1, vcc
	v_lshlrev_b32_e32 v1, 5, v1
	v_add_lshl_u32 v1, v1, v10, 2
	ds_bpermute_b32 v2, v1, v8
	ds_bpermute_b32 v3, v1, v9
	v_cmp_gt_u32_e32 vcc, 48, v12
	v_cndmask_b32_e64 v4, 0, 1, vcc
	v_lshlrev_b32_e32 v4, 4, v4
	v_add_lshl_u32 v6, v4, v10, 2
	s_waitcnt lgkmcnt(0)
	v_add_f64 v[2:3], v[8:9], v[2:3]
	ds_bpermute_b32 v4, v6, v2
	ds_bpermute_b32 v5, v6, v3
	v_cmp_gt_u32_e32 vcc, 56, v12
	v_and_b32_e32 v11, 63, v0
	s_waitcnt lgkmcnt(0)
	s_barrier
	v_add_f64 v[2:3], v[2:3], v[4:5]
	v_cndmask_b32_e64 v4, 0, 1, vcc
	v_lshlrev_b32_e32 v4, 3, v4
	v_add_lshl_u32 v7, v4, v10, 2
	ds_bpermute_b32 v4, v7, v2
	ds_bpermute_b32 v5, v7, v3
	v_cmp_gt_u32_e32 vcc, 60, v12
	s_waitcnt lgkmcnt(0)
	v_add_f64 v[2:3], v[2:3], v[4:5]
	v_cndmask_b32_e64 v4, 0, 1, vcc
	v_lshlrev_b32_e32 v4, 2, v4
	v_add_lshl_u32 v8, v4, v10, 2
	ds_bpermute_b32 v4, v8, v2
	ds_bpermute_b32 v5, v8, v3
	v_cmp_gt_u32_e32 vcc, 62, v12
	s_waitcnt lgkmcnt(0)
	v_add_f64 v[2:3], v[2:3], v[4:5]
	v_cndmask_b32_e64 v4, 0, 1, vcc
	v_lshlrev_b32_e32 v4, 1, v4
	v_add_lshl_u32 v9, v4, v10, 2
	ds_bpermute_b32 v4, v9, v2
	ds_bpermute_b32 v5, v9, v3
	v_cmp_ne_u32_e32 vcc, 63, v12
	s_waitcnt lgkmcnt(0)
	v_add_f64 v[2:3], v[2:3], v[4:5]
	v_addc_co_u32_e32 v4, vcc, 0, v10, vcc
	v_lshlrev_b32_e32 v10, 2, v4
	ds_bpermute_b32 v4, v10, v2
	ds_bpermute_b32 v5, v10, v3
	v_cmp_eq_u32_e32 vcc, 0, v11
	s_and_saveexec_b64 s[0:1], vcc
	s_cbranch_execz .LBB12_6
; %bb.5:
	v_lshrrev_b32_e32 v12, 3, v0
	s_waitcnt lgkmcnt(0)
	v_add_f64 v[2:3], v[2:3], v[4:5]
	ds_write_b64 v12, v[2:3]
.LBB12_6:
	s_or_b64 exec, exec, s[0:1]
	s_lshr_b32 s0, s16, 6
	v_cmp_gt_u32_e32 vcc, s0, v0
	v_pk_mov_b32 v[2:3], 0, 0
	s_waitcnt lgkmcnt(0)
	s_barrier
	s_and_saveexec_b64 s[0:1], vcc
	s_cbranch_execnz .LBB12_10
; %bb.7:
	s_or_b64 exec, exec, s[0:1]
	v_cmp_gt_u32_e32 vcc, 64, v0
	s_and_saveexec_b64 s[0:1], vcc
	s_cbranch_execnz .LBB12_11
.LBB12_8:
	s_or_b64 exec, exec, s[0:1]
	v_cmp_eq_u32_e32 vcc, 0, v0
	s_and_saveexec_b64 s[0:1], vcc
	s_cbranch_execnz .LBB12_12
.LBB12_9:
	s_endpgm
.LBB12_10:
	v_lshlrev_b32_e32 v2, 3, v11
	ds_read_b64 v[2:3], v2
	s_or_b64 exec, exec, s[0:1]
	v_cmp_gt_u32_e32 vcc, 64, v0
	s_and_saveexec_b64 s[0:1], vcc
	s_cbranch_execz .LBB12_8
.LBB12_11:
	s_waitcnt lgkmcnt(0)
	ds_bpermute_b32 v4, v1, v2
	ds_bpermute_b32 v5, v1, v3
	s_waitcnt lgkmcnt(0)
	v_add_f64 v[2:3], v[2:3], v[4:5]
	ds_bpermute_b32 v4, v6, v2
	ds_bpermute_b32 v5, v6, v3
	s_waitcnt lgkmcnt(0)
	v_add_f64 v[2:3], v[2:3], v[4:5]
	ds_bpermute_b32 v4, v7, v2
	ds_bpermute_b32 v5, v7, v3
	s_waitcnt lgkmcnt(0)
	v_add_f64 v[2:3], v[2:3], v[4:5]
	ds_bpermute_b32 v4, v8, v2
	ds_bpermute_b32 v5, v8, v3
	s_waitcnt lgkmcnt(0)
	v_add_f64 v[2:3], v[2:3], v[4:5]
	ds_bpermute_b32 v4, v9, v2
	ds_bpermute_b32 v5, v9, v3
	s_waitcnt lgkmcnt(0)
	v_add_f64 v[2:3], v[2:3], v[4:5]
	ds_bpermute_b32 v4, v10, v2
	ds_bpermute_b32 v5, v10, v3
	s_waitcnt lgkmcnt(0)
	v_add_f64 v[2:3], v[2:3], v[4:5]
	s_or_b64 exec, exec, s[0:1]
	v_cmp_eq_u32_e32 vcc, 0, v0
	s_and_saveexec_b64 s[0:1], vcc
	s_cbranch_execz .LBB12_9
.LBB12_12:
	s_lshl_b64 s[0:1], s[6:7], 3
	s_add_u32 s0, s8, s0
	s_addc_u32 s1, s9, s1
	v_mov_b32_e32 v0, 0
	s_waitcnt lgkmcnt(0)
	global_store_dwordx2 v0, v[2:3], s[0:1]
	s_endpgm
	.section	.rodata,"a",@progbits
	.p2align	6, 0x0
	.amdhsa_kernel _ZN2at6native12_GLOBAL__N_122pdist_kernel_cuda_implIdNS1_5distsIdE3oneEEEvPT_PKS6_llS6_dd
		.amdhsa_group_segment_fixed_size 2048
		.amdhsa_private_segment_fixed_size 0
		.amdhsa_kernarg_size 312
		.amdhsa_user_sgpr_count 6
		.amdhsa_user_sgpr_private_segment_buffer 1
		.amdhsa_user_sgpr_dispatch_ptr 0
		.amdhsa_user_sgpr_queue_ptr 0
		.amdhsa_user_sgpr_kernarg_segment_ptr 1
		.amdhsa_user_sgpr_dispatch_id 0
		.amdhsa_user_sgpr_flat_scratch_init 0
		.amdhsa_user_sgpr_kernarg_preload_length 0
		.amdhsa_user_sgpr_kernarg_preload_offset 0
		.amdhsa_user_sgpr_private_segment_size 0
		.amdhsa_uses_dynamic_stack 0
		.amdhsa_system_sgpr_private_segment_wavefront_offset 0
		.amdhsa_system_sgpr_workgroup_id_x 1
		.amdhsa_system_sgpr_workgroup_id_y 0
		.amdhsa_system_sgpr_workgroup_id_z 0
		.amdhsa_system_sgpr_workgroup_info 0
		.amdhsa_system_vgpr_workitem_id 0
		.amdhsa_next_free_vgpr 22
		.amdhsa_next_free_sgpr 24
		.amdhsa_accum_offset 24
		.amdhsa_reserve_vcc 1
		.amdhsa_reserve_flat_scratch 0
		.amdhsa_float_round_mode_32 0
		.amdhsa_float_round_mode_16_64 0
		.amdhsa_float_denorm_mode_32 3
		.amdhsa_float_denorm_mode_16_64 3
		.amdhsa_dx10_clamp 1
		.amdhsa_ieee_mode 1
		.amdhsa_fp16_overflow 0
		.amdhsa_tg_split 0
		.amdhsa_exception_fp_ieee_invalid_op 0
		.amdhsa_exception_fp_denorm_src 0
		.amdhsa_exception_fp_ieee_div_zero 0
		.amdhsa_exception_fp_ieee_overflow 0
		.amdhsa_exception_fp_ieee_underflow 0
		.amdhsa_exception_fp_ieee_inexact 0
		.amdhsa_exception_int_div_zero 0
	.end_amdhsa_kernel
	.section	.text._ZN2at6native12_GLOBAL__N_122pdist_kernel_cuda_implIdNS1_5distsIdE3oneEEEvPT_PKS6_llS6_dd,"axG",@progbits,_ZN2at6native12_GLOBAL__N_122pdist_kernel_cuda_implIdNS1_5distsIdE3oneEEEvPT_PKS6_llS6_dd,comdat
.Lfunc_end12:
	.size	_ZN2at6native12_GLOBAL__N_122pdist_kernel_cuda_implIdNS1_5distsIdE3oneEEEvPT_PKS6_llS6_dd, .Lfunc_end12-_ZN2at6native12_GLOBAL__N_122pdist_kernel_cuda_implIdNS1_5distsIdE3oneEEEvPT_PKS6_llS6_dd
                                        ; -- End function
	.section	.AMDGPU.csdata,"",@progbits
; Kernel info:
; codeLenInByte = 1308
; NumSgprs: 28
; NumVgprs: 22
; NumAgprs: 0
; TotalNumVgprs: 22
; ScratchSize: 0
; MemoryBound: 0
; FloatMode: 240
; IeeeMode: 1
; LDSByteSize: 2048 bytes/workgroup (compile time only)
; SGPRBlocks: 3
; VGPRBlocks: 2
; NumSGPRsForWavesPerEU: 28
; NumVGPRsForWavesPerEU: 22
; AccumOffset: 24
; Occupancy: 8
; WaveLimiterHint : 0
; COMPUTE_PGM_RSRC2:SCRATCH_EN: 0
; COMPUTE_PGM_RSRC2:USER_SGPR: 6
; COMPUTE_PGM_RSRC2:TRAP_HANDLER: 0
; COMPUTE_PGM_RSRC2:TGID_X_EN: 1
; COMPUTE_PGM_RSRC2:TGID_Y_EN: 0
; COMPUTE_PGM_RSRC2:TGID_Z_EN: 0
; COMPUTE_PGM_RSRC2:TIDIG_COMP_CNT: 0
; COMPUTE_PGM_RSRC3_GFX90A:ACCUM_OFFSET: 5
; COMPUTE_PGM_RSRC3_GFX90A:TG_SPLIT: 0
	.section	.text._ZN2at6native12_GLOBAL__N_122pdist_kernel_cuda_implIdNS1_5distsIdE3twoEEEvPT_PKS6_llS6_dd,"axG",@progbits,_ZN2at6native12_GLOBAL__N_122pdist_kernel_cuda_implIdNS1_5distsIdE3twoEEEvPT_PKS6_llS6_dd,comdat
	.globl	_ZN2at6native12_GLOBAL__N_122pdist_kernel_cuda_implIdNS1_5distsIdE3twoEEEvPT_PKS6_llS6_dd ; -- Begin function _ZN2at6native12_GLOBAL__N_122pdist_kernel_cuda_implIdNS1_5distsIdE3twoEEEvPT_PKS6_llS6_dd
	.p2align	8
	.type	_ZN2at6native12_GLOBAL__N_122pdist_kernel_cuda_implIdNS1_5distsIdE3twoEEEvPT_PKS6_llS6_dd,@function
_ZN2at6native12_GLOBAL__N_122pdist_kernel_cuda_implIdNS1_5distsIdE3twoEEEvPT_PKS6_llS6_dd: ; @_ZN2at6native12_GLOBAL__N_122pdist_kernel_cuda_implIdNS1_5distsIdE3twoEEEvPT_PKS6_llS6_dd
; %bb.0:
	s_load_dword s0, s[4:5], 0x44
	s_load_dwordx8 s[8:15], s[4:5], 0x0
	v_mov_b32_e32 v1, 0
	s_mov_b32 s7, 0
	v_pk_mov_b32 v[8:9], 0, 0
	s_waitcnt lgkmcnt(0)
	s_and_b32 s16, s0, 0xffff
	v_cmp_gt_i64_e32 vcc, s[14:15], v[0:1]
	s_and_saveexec_b64 s[0:1], vcc
	s_cbranch_execz .LBB13_4
; %bb.1:
	s_load_dwordx4 s[20:23], s[4:5], 0x28
	s_lshl_b64 s[2:3], s[6:7], 1
	v_cvt_f64_u32_e32 v[2:3], s3
	v_ldexp_f64 v[2:3], v[2:3], 32
	v_cvt_f64_u32_e32 v[4:5], s2
	v_add_f64 v[2:3], v[2:3], v[4:5]
	s_mov_b32 s2, 0
	s_waitcnt lgkmcnt(0)
	v_add_f64 v[2:3], s[22:23], -v[2:3]
	s_brev_b32 s3, 8
	v_cmp_gt_f64_e32 vcc, s[2:3], v[2:3]
	v_cndmask_b32_e64 v1, 0, 1, vcc
	v_lshlrev_b32_e32 v1, 8, v1
	v_ldexp_f64 v[2:3], v[2:3], v1
	v_rsq_f64_e32 v[4:5], v[2:3]
	s_and_b64 s[2:3], vcc, exec
	s_cselect_b32 s2, 0xffffff80, 0
	v_mov_b32_e32 v1, 0x260
	v_mul_f64 v[6:7], v[2:3], v[4:5]
	v_mul_f64 v[4:5], v[4:5], 0.5
	v_fma_f64 v[8:9], -v[4:5], v[6:7], 0.5
	v_fmac_f64_e32 v[6:7], v[6:7], v[8:9]
	v_fma_f64 v[10:11], -v[6:7], v[6:7], v[2:3]
	v_fmac_f64_e32 v[4:5], v[4:5], v[8:9]
	v_fmac_f64_e32 v[6:7], v[10:11], v[4:5]
	v_fma_f64 v[8:9], -v[6:7], v[6:7], v[2:3]
	v_fmac_f64_e32 v[6:7], v[8:9], v[4:5]
	v_ldexp_f64 v[4:5], v[6:7], s2
	v_cmp_class_f64_e32 vcc, v[2:3], v1
	v_cndmask_b32_e32 v3, v5, v3, vcc
	v_cndmask_b32_e32 v2, v4, v2, vcc
	v_add_f64 v[2:3], s[20:21], -v[2:3]
	v_trunc_f64_e32 v[2:3], v[2:3]
	s_movk_i32 s2, 0xffe0
	v_ldexp_f64 v[4:5], v[2:3], s2
	v_floor_f64_e32 v[4:5], v[4:5]
	v_fmac_f64_e32 v[2:3], 0xc1f00000, v[4:5]
	v_cvt_u32_f64_e32 v1, v[2:3]
	v_cvt_i32_f64_e32 v2, v[4:5]
	v_mul_lo_u32 v3, v1, s15
	v_mul_hi_u32 v4, v1, s14
	v_readfirstlane_b32 s5, v2
	v_add_u32_e32 v3, v4, v3
	v_mul_lo_u32 v2, v2, s14
	v_add_u32_e32 v3, v3, v2
	v_mul_lo_u32 v2, v1, s14
	v_lshlrev_b64 v[2:3], 3, v[2:3]
	v_readfirstlane_b32 s4, v1
	v_mov_b32_e32 v1, s11
	v_add_co_u32_e32 v6, vcc, s10, v2
	v_addc_co_u32_e32 v1, vcc, v1, v3, vcc
	s_lshl_b64 s[2:3], s[14:15], 3
	v_add_co_u32_e32 v4, vcc, s2, v6
	s_add_u32 s2, s4, 1
	v_mov_b32_e32 v5, s3
	s_addc_u32 s3, s5, 0
	s_add_u32 s17, s2, s6
	s_mul_i32 s13, s4, s13
	s_mul_hi_u32 s19, s4, s12
	s_addc_u32 s18, s3, 0
	s_add_i32 s13, s19, s13
	s_mul_i32 s19, s5, s12
	s_add_i32 s13, s13, s19
	s_mul_i32 s12, s4, s12
	s_sub_u32 s12, s17, s12
	s_mul_hi_u32 s17, s2, s4
	s_mul_i32 s5, s2, s5
	s_subb_u32 s13, s18, s13
	s_mul_i32 s3, s3, s4
	s_add_i32 s5, s17, s5
	s_add_i32 s5, s5, s3
	s_mul_i32 s2, s2, s4
	s_lshr_b32 s3, s5, 31
	s_add_u32 s2, s2, s3
	s_addc_u32 s3, s5, 0
	s_ashr_i64 s[2:3], s[2:3], 1
	s_add_u32 s2, s12, s2
	s_addc_u32 s3, s13, s3
	v_addc_co_u32_e32 v5, vcc, v1, v5, vcc
	v_lshlrev_b32_e32 v8, 3, v0
	s_mul_i32 s3, s14, s3
	s_mul_hi_u32 s4, s14, s2
	v_add_co_u32_e32 v6, vcc, v6, v8
	s_add_i32 s3, s4, s3
	s_mul_i32 s4, s15, s2
	v_addc_co_u32_e32 v7, vcc, 0, v1, vcc
	s_add_i32 s3, s3, s4
	s_mul_i32 s2, s14, s2
	s_lshl_b64 s[2:3], s[2:3], 3
	v_mov_b32_e32 v1, s11
	v_add_co_u32_e32 v10, vcc, s10, v8
	v_addc_co_u32_e32 v1, vcc, 0, v1, vcc
	s_lshl_b32 s10, s16, 3
	s_mov_b64 s[4:5], 0
	v_pk_mov_b32 v[8:9], 0, 0
	v_mov_b32_e32 v11, s3
	s_lshl_b32 s3, s16, 3
	v_mov_b32_e32 v12, s7
	s_mov_b32 s11, s7
.LBB13_2:                               ; =>This Inner Loop Header: Depth=1
	v_add_co_u32_e32 v14, vcc, s2, v10
	v_addc_co_u32_e32 v15, vcc, v1, v11, vcc
	v_add_co_u32_e32 v16, vcc, v10, v2
	v_addc_co_u32_e32 v17, vcc, v1, v3, vcc
	global_load_dwordx2 v[18:19], v[16:17], off
	global_load_dwordx2 v[20:21], v[14:15], off
	v_add_co_u32_e32 v6, vcc, s3, v6
	v_addc_co_u32_e32 v7, vcc, 0, v7, vcc
	v_add_co_u32_e32 v10, vcc, s10, v10
	v_addc_co_u32_e32 v1, vcc, v1, v12, vcc
	v_cmp_ge_u64_e32 vcc, v[6:7], v[4:5]
	s_or_b64 s[4:5], vcc, s[4:5]
	s_waitcnt vmcnt(0)
	v_add_f64 v[14:15], v[18:19], -v[20:21]
	v_fmac_f64_e32 v[8:9], v[14:15], v[14:15]
	s_andn2_b64 exec, exec, s[4:5]
	s_cbranch_execnz .LBB13_2
; %bb.3:
	s_or_b64 exec, exec, s[4:5]
.LBB13_4:
	s_or_b64 exec, exec, s[0:1]
	v_mbcnt_lo_u32_b32 v1, -1, 0
	v_mbcnt_hi_u32_b32 v10, -1, v1
	v_and_b32_e32 v12, 63, v10
	v_cmp_gt_u32_e32 vcc, 32, v12
	v_cndmask_b32_e64 v1, 0, 1, vcc
	v_lshlrev_b32_e32 v1, 5, v1
	v_add_lshl_u32 v1, v1, v10, 2
	ds_bpermute_b32 v2, v1, v8
	ds_bpermute_b32 v3, v1, v9
	v_cmp_gt_u32_e32 vcc, 48, v12
	v_cndmask_b32_e64 v4, 0, 1, vcc
	v_lshlrev_b32_e32 v4, 4, v4
	v_add_lshl_u32 v6, v4, v10, 2
	s_waitcnt lgkmcnt(0)
	v_add_f64 v[2:3], v[8:9], v[2:3]
	ds_bpermute_b32 v4, v6, v2
	ds_bpermute_b32 v5, v6, v3
	v_cmp_gt_u32_e32 vcc, 56, v12
	v_and_b32_e32 v11, 63, v0
	s_waitcnt lgkmcnt(0)
	s_barrier
	v_add_f64 v[2:3], v[2:3], v[4:5]
	v_cndmask_b32_e64 v4, 0, 1, vcc
	v_lshlrev_b32_e32 v4, 3, v4
	v_add_lshl_u32 v7, v4, v10, 2
	ds_bpermute_b32 v4, v7, v2
	ds_bpermute_b32 v5, v7, v3
	v_cmp_gt_u32_e32 vcc, 60, v12
	s_waitcnt lgkmcnt(0)
	v_add_f64 v[2:3], v[2:3], v[4:5]
	v_cndmask_b32_e64 v4, 0, 1, vcc
	v_lshlrev_b32_e32 v4, 2, v4
	v_add_lshl_u32 v8, v4, v10, 2
	ds_bpermute_b32 v4, v8, v2
	ds_bpermute_b32 v5, v8, v3
	v_cmp_gt_u32_e32 vcc, 62, v12
	s_waitcnt lgkmcnt(0)
	v_add_f64 v[2:3], v[2:3], v[4:5]
	v_cndmask_b32_e64 v4, 0, 1, vcc
	v_lshlrev_b32_e32 v4, 1, v4
	v_add_lshl_u32 v9, v4, v10, 2
	ds_bpermute_b32 v4, v9, v2
	ds_bpermute_b32 v5, v9, v3
	v_cmp_ne_u32_e32 vcc, 63, v12
	s_waitcnt lgkmcnt(0)
	v_add_f64 v[2:3], v[2:3], v[4:5]
	v_addc_co_u32_e32 v4, vcc, 0, v10, vcc
	v_lshlrev_b32_e32 v10, 2, v4
	ds_bpermute_b32 v4, v10, v2
	ds_bpermute_b32 v5, v10, v3
	v_cmp_eq_u32_e32 vcc, 0, v11
	s_and_saveexec_b64 s[0:1], vcc
	s_cbranch_execz .LBB13_6
; %bb.5:
	v_lshrrev_b32_e32 v12, 3, v0
	s_waitcnt lgkmcnt(0)
	v_add_f64 v[2:3], v[2:3], v[4:5]
	ds_write_b64 v12, v[2:3]
.LBB13_6:
	s_or_b64 exec, exec, s[0:1]
	s_lshr_b32 s0, s16, 6
	v_cmp_gt_u32_e32 vcc, s0, v0
	v_pk_mov_b32 v[2:3], 0, 0
	s_waitcnt lgkmcnt(0)
	s_barrier
	s_and_saveexec_b64 s[0:1], vcc
	s_cbranch_execnz .LBB13_10
; %bb.7:
	s_or_b64 exec, exec, s[0:1]
	v_cmp_gt_u32_e32 vcc, 64, v0
	s_and_saveexec_b64 s[0:1], vcc
	s_cbranch_execnz .LBB13_11
.LBB13_8:
	s_or_b64 exec, exec, s[0:1]
	v_cmp_eq_u32_e32 vcc, 0, v0
	s_and_saveexec_b64 s[0:1], vcc
	s_cbranch_execnz .LBB13_12
.LBB13_9:
	s_endpgm
.LBB13_10:
	v_lshlrev_b32_e32 v2, 3, v11
	ds_read_b64 v[2:3], v2
	s_or_b64 exec, exec, s[0:1]
	v_cmp_gt_u32_e32 vcc, 64, v0
	s_and_saveexec_b64 s[0:1], vcc
	s_cbranch_execz .LBB13_8
.LBB13_11:
	s_waitcnt lgkmcnt(0)
	ds_bpermute_b32 v4, v1, v2
	ds_bpermute_b32 v5, v1, v3
	s_waitcnt lgkmcnt(0)
	v_add_f64 v[2:3], v[2:3], v[4:5]
	ds_bpermute_b32 v4, v6, v2
	ds_bpermute_b32 v5, v6, v3
	s_waitcnt lgkmcnt(0)
	v_add_f64 v[2:3], v[2:3], v[4:5]
	;; [unrolled: 4-line block ×6, first 2 shown]
	s_or_b64 exec, exec, s[0:1]
	v_cmp_eq_u32_e32 vcc, 0, v0
	s_and_saveexec_b64 s[0:1], vcc
	s_cbranch_execz .LBB13_9
.LBB13_12:
	s_mov_b32 s2, 0
	s_brev_b32 s3, 8
	s_waitcnt lgkmcnt(0)
	v_cmp_gt_f64_e32 vcc, s[2:3], v[2:3]
	v_cndmask_b32_e64 v0, 0, 1, vcc
	v_lshlrev_b32_e32 v0, 8, v0
	v_ldexp_f64 v[0:1], v[2:3], v0
	v_rsq_f64_e32 v[2:3], v[0:1]
	s_lshl_b64 s[0:1], s[6:7], 3
	s_add_u32 s0, s8, s0
	s_addc_u32 s1, s9, s1
	v_mul_f64 v[4:5], v[0:1], v[2:3]
	v_mul_f64 v[2:3], v[2:3], 0.5
	v_fma_f64 v[6:7], -v[2:3], v[4:5], 0.5
	v_fmac_f64_e32 v[4:5], v[4:5], v[6:7]
	v_fma_f64 v[8:9], -v[4:5], v[4:5], v[0:1]
	v_fmac_f64_e32 v[2:3], v[2:3], v[6:7]
	v_fmac_f64_e32 v[4:5], v[8:9], v[2:3]
	v_fma_f64 v[6:7], -v[4:5], v[4:5], v[0:1]
	v_fmac_f64_e32 v[4:5], v[6:7], v[2:3]
	v_mov_b32_e32 v2, 0xffffff80
	v_cndmask_b32_e32 v2, 0, v2, vcc
	v_ldexp_f64 v[2:3], v[4:5], v2
	v_mov_b32_e32 v4, 0x260
	v_cmp_class_f64_e32 vcc, v[0:1], v4
	v_mov_b32_e32 v10, 0
	v_cndmask_b32_e32 v1, v3, v1, vcc
	v_cndmask_b32_e32 v0, v2, v0, vcc
	global_store_dwordx2 v10, v[0:1], s[0:1]
	s_endpgm
	.section	.rodata,"a",@progbits
	.p2align	6, 0x0
	.amdhsa_kernel _ZN2at6native12_GLOBAL__N_122pdist_kernel_cuda_implIdNS1_5distsIdE3twoEEEvPT_PKS6_llS6_dd
		.amdhsa_group_segment_fixed_size 2048
		.amdhsa_private_segment_fixed_size 0
		.amdhsa_kernarg_size 312
		.amdhsa_user_sgpr_count 6
		.amdhsa_user_sgpr_private_segment_buffer 1
		.amdhsa_user_sgpr_dispatch_ptr 0
		.amdhsa_user_sgpr_queue_ptr 0
		.amdhsa_user_sgpr_kernarg_segment_ptr 1
		.amdhsa_user_sgpr_dispatch_id 0
		.amdhsa_user_sgpr_flat_scratch_init 0
		.amdhsa_user_sgpr_kernarg_preload_length 0
		.amdhsa_user_sgpr_kernarg_preload_offset 0
		.amdhsa_user_sgpr_private_segment_size 0
		.amdhsa_uses_dynamic_stack 0
		.amdhsa_system_sgpr_private_segment_wavefront_offset 0
		.amdhsa_system_sgpr_workgroup_id_x 1
		.amdhsa_system_sgpr_workgroup_id_y 0
		.amdhsa_system_sgpr_workgroup_id_z 0
		.amdhsa_system_sgpr_workgroup_info 0
		.amdhsa_system_vgpr_workitem_id 0
		.amdhsa_next_free_vgpr 22
		.amdhsa_next_free_sgpr 24
		.amdhsa_accum_offset 24
		.amdhsa_reserve_vcc 1
		.amdhsa_reserve_flat_scratch 0
		.amdhsa_float_round_mode_32 0
		.amdhsa_float_round_mode_16_64 0
		.amdhsa_float_denorm_mode_32 3
		.amdhsa_float_denorm_mode_16_64 3
		.amdhsa_dx10_clamp 1
		.amdhsa_ieee_mode 1
		.amdhsa_fp16_overflow 0
		.amdhsa_tg_split 0
		.amdhsa_exception_fp_ieee_invalid_op 0
		.amdhsa_exception_fp_denorm_src 0
		.amdhsa_exception_fp_ieee_div_zero 0
		.amdhsa_exception_fp_ieee_overflow 0
		.amdhsa_exception_fp_ieee_underflow 0
		.amdhsa_exception_fp_ieee_inexact 0
		.amdhsa_exception_int_div_zero 0
	.end_amdhsa_kernel
	.section	.text._ZN2at6native12_GLOBAL__N_122pdist_kernel_cuda_implIdNS1_5distsIdE3twoEEEvPT_PKS6_llS6_dd,"axG",@progbits,_ZN2at6native12_GLOBAL__N_122pdist_kernel_cuda_implIdNS1_5distsIdE3twoEEEvPT_PKS6_llS6_dd,comdat
.Lfunc_end13:
	.size	_ZN2at6native12_GLOBAL__N_122pdist_kernel_cuda_implIdNS1_5distsIdE3twoEEEvPT_PKS6_llS6_dd, .Lfunc_end13-_ZN2at6native12_GLOBAL__N_122pdist_kernel_cuda_implIdNS1_5distsIdE3twoEEEvPT_PKS6_llS6_dd
                                        ; -- End function
	.section	.AMDGPU.csdata,"",@progbits
; Kernel info:
; codeLenInByte = 1436
; NumSgprs: 28
; NumVgprs: 22
; NumAgprs: 0
; TotalNumVgprs: 22
; ScratchSize: 0
; MemoryBound: 0
; FloatMode: 240
; IeeeMode: 1
; LDSByteSize: 2048 bytes/workgroup (compile time only)
; SGPRBlocks: 3
; VGPRBlocks: 2
; NumSGPRsForWavesPerEU: 28
; NumVGPRsForWavesPerEU: 22
; AccumOffset: 24
; Occupancy: 8
; WaveLimiterHint : 0
; COMPUTE_PGM_RSRC2:SCRATCH_EN: 0
; COMPUTE_PGM_RSRC2:USER_SGPR: 6
; COMPUTE_PGM_RSRC2:TRAP_HANDLER: 0
; COMPUTE_PGM_RSRC2:TGID_X_EN: 1
; COMPUTE_PGM_RSRC2:TGID_Y_EN: 0
; COMPUTE_PGM_RSRC2:TGID_Z_EN: 0
; COMPUTE_PGM_RSRC2:TIDIG_COMP_CNT: 0
; COMPUTE_PGM_RSRC3_GFX90A:ACCUM_OFFSET: 5
; COMPUTE_PGM_RSRC3_GFX90A:TG_SPLIT: 0
	.section	.text._ZN2at6native12_GLOBAL__N_122pdist_kernel_cuda_implIdNS1_5distsIdE3infEEEvPT_PKS6_llS6_dd,"axG",@progbits,_ZN2at6native12_GLOBAL__N_122pdist_kernel_cuda_implIdNS1_5distsIdE3infEEEvPT_PKS6_llS6_dd,comdat
	.globl	_ZN2at6native12_GLOBAL__N_122pdist_kernel_cuda_implIdNS1_5distsIdE3infEEEvPT_PKS6_llS6_dd ; -- Begin function _ZN2at6native12_GLOBAL__N_122pdist_kernel_cuda_implIdNS1_5distsIdE3infEEEvPT_PKS6_llS6_dd
	.p2align	8
	.type	_ZN2at6native12_GLOBAL__N_122pdist_kernel_cuda_implIdNS1_5distsIdE3infEEEvPT_PKS6_llS6_dd,@function
_ZN2at6native12_GLOBAL__N_122pdist_kernel_cuda_implIdNS1_5distsIdE3infEEEvPT_PKS6_llS6_dd: ; @_ZN2at6native12_GLOBAL__N_122pdist_kernel_cuda_implIdNS1_5distsIdE3infEEEvPT_PKS6_llS6_dd
; %bb.0:
	s_load_dword s0, s[4:5], 0x44
	s_load_dwordx8 s[8:15], s[4:5], 0x0
	v_mov_b32_e32 v1, 0
	s_mov_b32 s7, 0
	v_pk_mov_b32 v[8:9], 0, 0
	s_waitcnt lgkmcnt(0)
	s_and_b32 s16, s0, 0xffff
	v_cmp_gt_i64_e32 vcc, s[14:15], v[0:1]
	s_and_saveexec_b64 s[0:1], vcc
	s_cbranch_execz .LBB14_4
; %bb.1:
	s_load_dwordx4 s[20:23], s[4:5], 0x28
	s_lshl_b64 s[2:3], s[6:7], 1
	v_cvt_f64_u32_e32 v[2:3], s3
	v_ldexp_f64 v[2:3], v[2:3], 32
	v_cvt_f64_u32_e32 v[4:5], s2
	v_add_f64 v[2:3], v[2:3], v[4:5]
	s_mov_b32 s2, 0
	s_waitcnt lgkmcnt(0)
	v_add_f64 v[2:3], s[22:23], -v[2:3]
	s_brev_b32 s3, 8
	v_cmp_gt_f64_e32 vcc, s[2:3], v[2:3]
	v_cndmask_b32_e64 v1, 0, 1, vcc
	v_lshlrev_b32_e32 v1, 8, v1
	v_ldexp_f64 v[2:3], v[2:3], v1
	v_rsq_f64_e32 v[4:5], v[2:3]
	s_and_b64 s[2:3], vcc, exec
	s_cselect_b32 s2, 0xffffff80, 0
	v_mov_b32_e32 v1, 0x260
	v_mul_f64 v[6:7], v[2:3], v[4:5]
	v_mul_f64 v[4:5], v[4:5], 0.5
	v_fma_f64 v[8:9], -v[4:5], v[6:7], 0.5
	v_fmac_f64_e32 v[6:7], v[6:7], v[8:9]
	v_fma_f64 v[10:11], -v[6:7], v[6:7], v[2:3]
	v_fmac_f64_e32 v[4:5], v[4:5], v[8:9]
	v_fmac_f64_e32 v[6:7], v[10:11], v[4:5]
	v_fma_f64 v[8:9], -v[6:7], v[6:7], v[2:3]
	v_fmac_f64_e32 v[6:7], v[8:9], v[4:5]
	v_ldexp_f64 v[4:5], v[6:7], s2
	v_cmp_class_f64_e32 vcc, v[2:3], v1
	v_cndmask_b32_e32 v3, v5, v3, vcc
	v_cndmask_b32_e32 v2, v4, v2, vcc
	v_add_f64 v[2:3], s[20:21], -v[2:3]
	v_trunc_f64_e32 v[2:3], v[2:3]
	s_movk_i32 s2, 0xffe0
	v_ldexp_f64 v[4:5], v[2:3], s2
	v_floor_f64_e32 v[4:5], v[4:5]
	v_fmac_f64_e32 v[2:3], 0xc1f00000, v[4:5]
	v_cvt_u32_f64_e32 v1, v[2:3]
	v_cvt_i32_f64_e32 v2, v[4:5]
	v_mul_lo_u32 v3, v1, s15
	v_mul_hi_u32 v4, v1, s14
	v_readfirstlane_b32 s5, v2
	v_add_u32_e32 v3, v4, v3
	v_mul_lo_u32 v2, v2, s14
	v_add_u32_e32 v3, v3, v2
	v_mul_lo_u32 v2, v1, s14
	v_lshlrev_b64 v[2:3], 3, v[2:3]
	v_readfirstlane_b32 s4, v1
	v_mov_b32_e32 v1, s11
	v_add_co_u32_e32 v6, vcc, s10, v2
	v_addc_co_u32_e32 v1, vcc, v1, v3, vcc
	s_lshl_b64 s[2:3], s[14:15], 3
	v_add_co_u32_e32 v4, vcc, s2, v6
	s_add_u32 s2, s4, 1
	v_mov_b32_e32 v5, s3
	s_addc_u32 s3, s5, 0
	s_add_u32 s17, s2, s6
	s_mul_i32 s13, s4, s13
	s_mul_hi_u32 s19, s4, s12
	s_addc_u32 s18, s3, 0
	s_add_i32 s13, s19, s13
	s_mul_i32 s19, s5, s12
	s_add_i32 s13, s13, s19
	s_mul_i32 s12, s4, s12
	s_sub_u32 s12, s17, s12
	s_mul_hi_u32 s17, s2, s4
	s_mul_i32 s5, s2, s5
	s_subb_u32 s13, s18, s13
	s_mul_i32 s3, s3, s4
	s_add_i32 s5, s17, s5
	s_add_i32 s5, s5, s3
	s_mul_i32 s2, s2, s4
	s_lshr_b32 s3, s5, 31
	s_add_u32 s2, s2, s3
	s_addc_u32 s3, s5, 0
	s_ashr_i64 s[2:3], s[2:3], 1
	s_add_u32 s2, s12, s2
	s_addc_u32 s3, s13, s3
	v_addc_co_u32_e32 v5, vcc, v1, v5, vcc
	v_lshlrev_b32_e32 v8, 3, v0
	s_mul_i32 s3, s14, s3
	s_mul_hi_u32 s4, s14, s2
	v_add_co_u32_e32 v6, vcc, v6, v8
	s_add_i32 s3, s4, s3
	s_mul_i32 s4, s15, s2
	v_addc_co_u32_e32 v7, vcc, 0, v1, vcc
	s_add_i32 s3, s3, s4
	s_mul_i32 s2, s14, s2
	s_lshl_b64 s[2:3], s[2:3], 3
	v_mov_b32_e32 v1, s11
	v_add_co_u32_e32 v10, vcc, s10, v8
	v_addc_co_u32_e32 v1, vcc, 0, v1, vcc
	s_lshl_b32 s10, s16, 3
	s_mov_b64 s[4:5], 0
	v_pk_mov_b32 v[8:9], 0, 0
	v_mov_b32_e32 v11, s3
	s_lshl_b32 s3, s16, 3
	v_mov_b32_e32 v12, s7
	s_mov_b32 s11, s7
.LBB14_2:                               ; =>This Inner Loop Header: Depth=1
	v_add_co_u32_e32 v14, vcc, s2, v10
	v_addc_co_u32_e32 v15, vcc, v1, v11, vcc
	v_add_co_u32_e32 v16, vcc, v10, v2
	v_addc_co_u32_e32 v17, vcc, v1, v3, vcc
	global_load_dwordx2 v[18:19], v[16:17], off
	global_load_dwordx2 v[20:21], v[14:15], off
	v_add_co_u32_e32 v6, vcc, s3, v6
	v_addc_co_u32_e32 v7, vcc, 0, v7, vcc
	v_add_co_u32_e32 v10, vcc, s10, v10
	v_addc_co_u32_e32 v1, vcc, v1, v12, vcc
	v_cmp_ge_u64_e32 vcc, v[6:7], v[4:5]
	s_or_b64 s[4:5], vcc, s[4:5]
	s_waitcnt vmcnt(0)
	v_add_f64 v[14:15], v[18:19], -v[20:21]
	v_and_b32_e32 v13, 0x7fffffff, v15
	v_cmp_lt_f64_e64 vcc, v[8:9], |v[14:15]|
	v_cndmask_b32_e32 v9, v9, v13, vcc
	v_cndmask_b32_e32 v8, v8, v14, vcc
	s_andn2_b64 exec, exec, s[4:5]
	s_cbranch_execnz .LBB14_2
; %bb.3:
	s_or_b64 exec, exec, s[4:5]
.LBB14_4:
	s_or_b64 exec, exec, s[0:1]
	v_mbcnt_lo_u32_b32 v1, -1, 0
	v_mbcnt_hi_u32_b32 v10, -1, v1
	v_and_b32_e32 v12, 63, v10
	v_cmp_gt_u32_e32 vcc, 32, v12
	v_cndmask_b32_e64 v1, 0, 1, vcc
	v_lshlrev_b32_e32 v1, 5, v1
	v_add_lshl_u32 v1, v1, v10, 2
	ds_bpermute_b32 v2, v1, v8
	ds_bpermute_b32 v3, v1, v9
	v_and_b32_e32 v11, 63, v0
	s_waitcnt lgkmcnt(0)
	s_barrier
	v_cmp_lt_f64_e32 vcc, v[8:9], v[2:3]
	v_cndmask_b32_e32 v3, v9, v3, vcc
	v_cndmask_b32_e32 v2, v8, v2, vcc
	v_cmp_gt_u32_e32 vcc, 48, v12
	v_cndmask_b32_e64 v4, 0, 1, vcc
	v_lshlrev_b32_e32 v4, 4, v4
	v_add_lshl_u32 v6, v4, v10, 2
	ds_bpermute_b32 v5, v6, v3
	ds_bpermute_b32 v4, v6, v2
	s_waitcnt lgkmcnt(0)
	v_cmp_lt_f64_e32 vcc, v[2:3], v[4:5]
	v_cndmask_b32_e32 v3, v3, v5, vcc
	v_cndmask_b32_e32 v2, v2, v4, vcc
	v_cmp_gt_u32_e32 vcc, 56, v12
	v_cndmask_b32_e64 v4, 0, 1, vcc
	v_lshlrev_b32_e32 v4, 3, v4
	v_add_lshl_u32 v7, v4, v10, 2
	ds_bpermute_b32 v4, v7, v2
	ds_bpermute_b32 v5, v7, v3
	s_waitcnt lgkmcnt(0)
	;; [unrolled: 10-line block ×4, first 2 shown]
	v_cmp_lt_f64_e32 vcc, v[2:3], v[4:5]
	v_cndmask_b32_e32 v3, v3, v5, vcc
	v_cndmask_b32_e32 v2, v2, v4, vcc
	v_cmp_ne_u32_e32 vcc, 63, v12
	v_addc_co_u32_e32 v4, vcc, 0, v10, vcc
	v_lshlrev_b32_e32 v10, 2, v4
	ds_bpermute_b32 v4, v10, v2
	ds_bpermute_b32 v5, v10, v3
	v_cmp_eq_u32_e32 vcc, 0, v11
	s_and_saveexec_b64 s[0:1], vcc
	s_cbranch_execz .LBB14_6
; %bb.5:
	s_waitcnt lgkmcnt(0)
	v_cmp_lt_f64_e32 vcc, v[2:3], v[4:5]
	v_lshrrev_b32_e32 v12, 3, v0
	v_cndmask_b32_e32 v3, v3, v5, vcc
	v_cndmask_b32_e32 v2, v2, v4, vcc
	ds_write_b64 v12, v[2:3]
.LBB14_6:
	s_or_b64 exec, exec, s[0:1]
	s_lshr_b32 s0, s16, 6
	v_cmp_gt_u32_e32 vcc, s0, v0
	v_pk_mov_b32 v[2:3], 0, 0
	s_waitcnt lgkmcnt(0)
	s_barrier
	s_and_saveexec_b64 s[0:1], vcc
	s_cbranch_execnz .LBB14_10
; %bb.7:
	s_or_b64 exec, exec, s[0:1]
	v_cmp_gt_u32_e32 vcc, 64, v0
	s_and_saveexec_b64 s[0:1], vcc
	s_cbranch_execnz .LBB14_11
.LBB14_8:
	s_or_b64 exec, exec, s[0:1]
	v_cmp_eq_u32_e32 vcc, 0, v0
	s_and_saveexec_b64 s[0:1], vcc
	s_cbranch_execnz .LBB14_12
.LBB14_9:
	s_endpgm
.LBB14_10:
	v_lshlrev_b32_e32 v2, 3, v11
	ds_read_b64 v[2:3], v2
	s_or_b64 exec, exec, s[0:1]
	v_cmp_gt_u32_e32 vcc, 64, v0
	s_and_saveexec_b64 s[0:1], vcc
	s_cbranch_execz .LBB14_8
.LBB14_11:
	s_waitcnt lgkmcnt(0)
	ds_bpermute_b32 v4, v1, v2
	ds_bpermute_b32 v5, v1, v3
	s_waitcnt lgkmcnt(0)
	v_cmp_lt_f64_e32 vcc, v[2:3], v[4:5]
	v_cndmask_b32_e32 v3, v3, v5, vcc
	v_cndmask_b32_e32 v2, v2, v4, vcc
	ds_bpermute_b32 v5, v6, v3
	ds_bpermute_b32 v4, v6, v2
	s_waitcnt lgkmcnt(0)
	v_cmp_lt_f64_e32 vcc, v[2:3], v[4:5]
	v_cndmask_b32_e32 v3, v3, v5, vcc
	v_cndmask_b32_e32 v2, v2, v4, vcc
	;; [unrolled: 6-line block ×6, first 2 shown]
	s_or_b64 exec, exec, s[0:1]
	v_cmp_eq_u32_e32 vcc, 0, v0
	s_and_saveexec_b64 s[0:1], vcc
	s_cbranch_execz .LBB14_9
.LBB14_12:
	s_lshl_b64 s[0:1], s[6:7], 3
	s_add_u32 s0, s8, s0
	s_addc_u32 s1, s9, s1
	v_mov_b32_e32 v0, 0
	s_waitcnt lgkmcnt(0)
	global_store_dwordx2 v0, v[2:3], s[0:1]
	s_endpgm
	.section	.rodata,"a",@progbits
	.p2align	6, 0x0
	.amdhsa_kernel _ZN2at6native12_GLOBAL__N_122pdist_kernel_cuda_implIdNS1_5distsIdE3infEEEvPT_PKS6_llS6_dd
		.amdhsa_group_segment_fixed_size 2048
		.amdhsa_private_segment_fixed_size 0
		.amdhsa_kernarg_size 312
		.amdhsa_user_sgpr_count 6
		.amdhsa_user_sgpr_private_segment_buffer 1
		.amdhsa_user_sgpr_dispatch_ptr 0
		.amdhsa_user_sgpr_queue_ptr 0
		.amdhsa_user_sgpr_kernarg_segment_ptr 1
		.amdhsa_user_sgpr_dispatch_id 0
		.amdhsa_user_sgpr_flat_scratch_init 0
		.amdhsa_user_sgpr_kernarg_preload_length 0
		.amdhsa_user_sgpr_kernarg_preload_offset 0
		.amdhsa_user_sgpr_private_segment_size 0
		.amdhsa_uses_dynamic_stack 0
		.amdhsa_system_sgpr_private_segment_wavefront_offset 0
		.amdhsa_system_sgpr_workgroup_id_x 1
		.amdhsa_system_sgpr_workgroup_id_y 0
		.amdhsa_system_sgpr_workgroup_id_z 0
		.amdhsa_system_sgpr_workgroup_info 0
		.amdhsa_system_vgpr_workitem_id 0
		.amdhsa_next_free_vgpr 22
		.amdhsa_next_free_sgpr 24
		.amdhsa_accum_offset 24
		.amdhsa_reserve_vcc 1
		.amdhsa_reserve_flat_scratch 0
		.amdhsa_float_round_mode_32 0
		.amdhsa_float_round_mode_16_64 0
		.amdhsa_float_denorm_mode_32 3
		.amdhsa_float_denorm_mode_16_64 3
		.amdhsa_dx10_clamp 1
		.amdhsa_ieee_mode 1
		.amdhsa_fp16_overflow 0
		.amdhsa_tg_split 0
		.amdhsa_exception_fp_ieee_invalid_op 0
		.amdhsa_exception_fp_denorm_src 0
		.amdhsa_exception_fp_ieee_div_zero 0
		.amdhsa_exception_fp_ieee_overflow 0
		.amdhsa_exception_fp_ieee_underflow 0
		.amdhsa_exception_fp_ieee_inexact 0
		.amdhsa_exception_int_div_zero 0
	.end_amdhsa_kernel
	.section	.text._ZN2at6native12_GLOBAL__N_122pdist_kernel_cuda_implIdNS1_5distsIdE3infEEEvPT_PKS6_llS6_dd,"axG",@progbits,_ZN2at6native12_GLOBAL__N_122pdist_kernel_cuda_implIdNS1_5distsIdE3infEEEvPT_PKS6_llS6_dd,comdat
.Lfunc_end14:
	.size	_ZN2at6native12_GLOBAL__N_122pdist_kernel_cuda_implIdNS1_5distsIdE3infEEEvPT_PKS6_llS6_dd, .Lfunc_end14-_ZN2at6native12_GLOBAL__N_122pdist_kernel_cuda_implIdNS1_5distsIdE3infEEEvPT_PKS6_llS6_dd
                                        ; -- End function
	.section	.AMDGPU.csdata,"",@progbits
; Kernel info:
; codeLenInByte = 1372
; NumSgprs: 28
; NumVgprs: 22
; NumAgprs: 0
; TotalNumVgprs: 22
; ScratchSize: 0
; MemoryBound: 0
; FloatMode: 240
; IeeeMode: 1
; LDSByteSize: 2048 bytes/workgroup (compile time only)
; SGPRBlocks: 3
; VGPRBlocks: 2
; NumSGPRsForWavesPerEU: 28
; NumVGPRsForWavesPerEU: 22
; AccumOffset: 24
; Occupancy: 8
; WaveLimiterHint : 0
; COMPUTE_PGM_RSRC2:SCRATCH_EN: 0
; COMPUTE_PGM_RSRC2:USER_SGPR: 6
; COMPUTE_PGM_RSRC2:TRAP_HANDLER: 0
; COMPUTE_PGM_RSRC2:TGID_X_EN: 1
; COMPUTE_PGM_RSRC2:TGID_Y_EN: 0
; COMPUTE_PGM_RSRC2:TGID_Z_EN: 0
; COMPUTE_PGM_RSRC2:TIDIG_COMP_CNT: 0
; COMPUTE_PGM_RSRC3_GFX90A:ACCUM_OFFSET: 5
; COMPUTE_PGM_RSRC3_GFX90A:TG_SPLIT: 0
	.section	.text._ZN2at6native12_GLOBAL__N_122pdist_kernel_cuda_implIfNS1_5distsIfE1pEEEvPT_PKS6_llS6_dd,"axG",@progbits,_ZN2at6native12_GLOBAL__N_122pdist_kernel_cuda_implIfNS1_5distsIfE1pEEEvPT_PKS6_llS6_dd,comdat
	.globl	_ZN2at6native12_GLOBAL__N_122pdist_kernel_cuda_implIfNS1_5distsIfE1pEEEvPT_PKS6_llS6_dd ; -- Begin function _ZN2at6native12_GLOBAL__N_122pdist_kernel_cuda_implIfNS1_5distsIfE1pEEEvPT_PKS6_llS6_dd
	.p2align	8
	.type	_ZN2at6native12_GLOBAL__N_122pdist_kernel_cuda_implIfNS1_5distsIfE1pEEEvPT_PKS6_llS6_dd,@function
_ZN2at6native12_GLOBAL__N_122pdist_kernel_cuda_implIfNS1_5distsIfE1pEEEvPT_PKS6_llS6_dd: ; @_ZN2at6native12_GLOBAL__N_122pdist_kernel_cuda_implIfNS1_5distsIfE1pEEEvPT_PKS6_llS6_dd
; %bb.0:
	s_load_dword s0, s[4:5], 0x44
	s_load_dwordx8 s[16:23], s[4:5], 0x0
	s_load_dword s24, s[4:5], 0x20
	v_mov_b32_e32 v1, 0
	s_mov_b32 s7, 0
	s_waitcnt lgkmcnt(0)
	s_and_b32 s25, s0, 0xffff
	v_cmp_gt_i64_e32 vcc, s[22:23], v[0:1]
	s_and_saveexec_b64 s[14:15], vcc
	s_cbranch_execz .LBB15_4
; %bb.1:
	s_load_dwordx4 s[0:3], s[4:5], 0x28
	s_lshl_b64 s[4:5], s[6:7], 1
	v_cvt_f64_u32_e32 v[2:3], s5
	v_ldexp_f64 v[2:3], v[2:3], 32
	v_cvt_f64_u32_e32 v[4:5], s4
	v_add_f64 v[2:3], v[2:3], v[4:5]
	s_waitcnt lgkmcnt(0)
	v_add_f64 v[2:3], s[2:3], -v[2:3]
	s_mov_b32 s2, 0
	s_brev_b32 s3, 8
	v_cmp_gt_f64_e32 vcc, s[2:3], v[2:3]
	v_cndmask_b32_e64 v1, 0, 1, vcc
	v_lshlrev_b32_e32 v1, 8, v1
	v_ldexp_f64 v[2:3], v[2:3], v1
	v_rsq_f64_e32 v[4:5], v[2:3]
	s_and_b64 s[2:3], vcc, exec
	s_cselect_b32 s2, 0xffffff80, 0
	v_mov_b32_e32 v1, 0x260
	v_mul_f64 v[6:7], v[2:3], v[4:5]
	v_mul_f64 v[4:5], v[4:5], 0.5
	v_fma_f64 v[8:9], -v[4:5], v[6:7], 0.5
	v_fmac_f64_e32 v[6:7], v[6:7], v[8:9]
	v_fma_f64 v[10:11], -v[6:7], v[6:7], v[2:3]
	v_fmac_f64_e32 v[4:5], v[4:5], v[8:9]
	v_fmac_f64_e32 v[6:7], v[10:11], v[4:5]
	v_fma_f64 v[8:9], -v[6:7], v[6:7], v[2:3]
	v_fmac_f64_e32 v[6:7], v[8:9], v[4:5]
	v_ldexp_f64 v[4:5], v[6:7], s2
	v_cmp_class_f64_e32 vcc, v[2:3], v1
	v_cndmask_b32_e32 v3, v5, v3, vcc
	v_cndmask_b32_e32 v2, v4, v2, vcc
	v_add_f64 v[2:3], s[0:1], -v[2:3]
	v_trunc_f64_e32 v[2:3], v[2:3]
	s_movk_i32 s0, 0xffe0
	v_ldexp_f64 v[4:5], v[2:3], s0
	v_floor_f64_e32 v[4:5], v[4:5]
	v_fmac_f64_e32 v[2:3], 0xc1f00000, v[4:5]
	v_cvt_u32_f64_e32 v1, v[2:3]
	v_cvt_i32_f64_e32 v2, v[4:5]
	v_mul_lo_u32 v3, v1, s23
	v_mul_hi_u32 v4, v1, s22
	v_readfirstlane_b32 s3, v2
	v_add_u32_e32 v3, v4, v3
	v_mul_lo_u32 v2, v2, s22
	v_add_u32_e32 v3, v3, v2
	v_mul_lo_u32 v2, v1, s22
	v_lshlrev_b64 v[2:3], 2, v[2:3]
	v_readfirstlane_b32 s2, v1
	v_mov_b32_e32 v1, s19
	v_add_co_u32_e32 v6, vcc, s18, v2
	v_addc_co_u32_e32 v1, vcc, v1, v3, vcc
	s_lshl_b64 s[0:1], s[22:23], 2
	v_add_co_u32_e32 v4, vcc, s0, v6
	s_add_u32 s0, s2, 1
	v_mov_b32_e32 v5, s1
	s_addc_u32 s1, s3, 0
	s_add_u32 s4, s0, s6
	s_mul_i32 s8, s2, s21
	s_mul_hi_u32 s9, s2, s20
	s_addc_u32 s5, s1, 0
	s_add_i32 s8, s9, s8
	s_mul_i32 s9, s3, s20
	s_add_i32 s8, s8, s9
	s_mul_i32 s9, s2, s20
	s_sub_u32 s4, s4, s9
	s_subb_u32 s5, s5, s8
	s_mul_hi_u32 s8, s0, s2
	s_mul_i32 s3, s0, s3
	s_mul_i32 s1, s1, s2
	s_add_i32 s3, s8, s3
	s_add_i32 s3, s3, s1
	s_mul_i32 s0, s0, s2
	s_lshr_b32 s1, s3, 31
	s_add_u32 s0, s0, s1
	s_addc_u32 s1, s3, 0
	s_ashr_i64 s[0:1], s[0:1], 1
	s_add_u32 s0, s4, s0
	s_addc_u32 s1, s5, s1
	v_addc_co_u32_e32 v5, vcc, v1, v5, vcc
	v_lshlrev_b32_e32 v8, 2, v0
	s_mul_i32 s1, s22, s1
	s_mul_hi_u32 s2, s22, s0
	v_add_co_u32_e32 v6, vcc, v6, v8
	s_add_i32 s1, s2, s1
	s_mul_i32 s2, s23, s0
	v_addc_co_u32_e32 v7, vcc, 0, v1, vcc
	s_add_i32 s1, s1, s2
	s_mul_i32 s0, s22, s0
	s_lshl_b64 s[20:21], s[0:1], 2
	v_mov_b32_e32 v1, s19
	v_add_co_u32_e32 v8, vcc, s18, v8
	v_addc_co_u32_e32 v9, vcc, 0, v1, vcc
	s_lshl_b32 s22, s25, 2
	s_mov_b64 s[18:19], 0
	v_mov_b32_e32 v1, 0
	v_mov_b32_e32 v14, s21
	;; [unrolled: 1-line block ×3, first 2 shown]
	s_mov_b32 s21, 0x3f2aaaab
	v_mov_b32_e32 v16, 0x3ecccdef
	s_mov_b32 s23, 0x3f317218
	s_movk_i32 s26, 0x204
	s_mov_b32 s27, 0x7f800000
	s_mov_b32 s28, 0x42b17218
	;; [unrolled: 1-line block ×4, first 2 shown]
	s_lshl_b32 s31, s25, 2
	v_mov_b32_e32 v17, 0x37000000
	v_mov_b32_e32 v18, 0x7f800000
	;; [unrolled: 1-line block ×4, first 2 shown]
.LBB15_2:                               ; =>This Inner Loop Header: Depth=1
	v_add_co_u32_e32 v10, vcc, s20, v8
	v_addc_co_u32_e32 v11, vcc, v9, v14, vcc
	v_add_co_u32_e32 v12, vcc, v8, v2
	v_addc_co_u32_e32 v13, vcc, v9, v3, vcc
	global_load_dword v22, v[12:13], off
	global_load_dword v23, v[10:11], off
	v_mov_b32_e32 v21, 0x3e91f4c4
	v_add_co_u32_e32 v6, vcc, s31, v6
	v_addc_co_u32_e32 v7, vcc, 0, v7, vcc
	v_add_co_u32_e32 v8, vcc, s22, v8
	v_addc_co_u32_e32 v9, vcc, v9, v20, vcc
	v_cmp_ge_u64_e32 vcc, v[6:7], v[4:5]
	s_waitcnt vmcnt(0)
	v_sub_f32_e32 v10, v22, v23
	v_cmp_eq_f32_e64 s[2:3], |v10|, 1.0
	v_cndmask_b32_e64 v32, v15, 1.0, s[2:3]
	v_cmp_neq_f32_e64 s[0:1], 0, v32
	v_cndmask_b32_e64 v33, 1.0, |v10|, s[0:1]
	v_frexp_mant_f32_e32 v12, v33
	v_cmp_gt_f32_e64 s[12:13], s21, v12
	v_cndmask_b32_e64 v13, 1.0, 2.0, s[12:13]
	v_cndmask_b32_e64 v34, |v15|, 1.0, s[2:3]
	v_mul_f32_e32 v12, v12, v13
	v_cvt_f64_f32_e32 v[10:11], v33
	v_cmp_neq_f32_e64 s[8:9], v32, v34
	v_cmp_gt_f32_e64 s[10:11], 1.0, v33
	v_add_f32_e32 v13, 1.0, v12
	v_cmp_gt_f32_e64 s[4:5], 0, v32
	v_cmp_eq_f32_e64 s[2:3], 0, v33
	v_frexp_exp_i32_f64_e32 v10, v[10:11]
	s_xor_b64 s[8:9], s[8:9], s[10:11]
	v_rcp_f32_e32 v23, v13
	v_cndmask_b32_e64 v11, v34, 0, s[8:9]
	s_xor_b64 s[4:5], s[4:5], s[2:3]
	v_subbrev_co_u32_e64 v10, s[8:9], 0, v10, s[12:13]
	v_cndmask_b32_e64 v35, v18, 0, s[4:5]
	v_cmp_eq_f32_e64 s[4:5], 1.0, v33
	v_cvt_f32_i32_e32 v10, v10
	v_cndmask_b32_e64 v36, v11, v33, s[4:5]
	v_add_f32_e32 v11, -1.0, v12
	v_mul_f32_e32 v28, v11, v23
	v_add_f32_e32 v22, -1.0, v13
	v_mul_f32_e32 v24, v13, v28
	v_sub_f32_e32 v25, v12, v22
	v_mul_f32_e32 v12, 0x3f317218, v10
	v_fma_f32 v26, v28, v13, -v24
	v_fma_f32 v22, v10, s23, -v12
	v_fmac_f32_e32 v26, v28, v25
	v_fmac_f32_e32 v22, 0xb102e308, v10
	v_add_f32_e32 v10, v24, v26
	v_sub_f32_e32 v25, v11, v10
	v_mov_b32_e32 v27, v10
	v_pk_add_f32 v[10:11], v[10:11], v[24:25] neg_lo:[0,1] neg_hi:[0,1]
	v_pk_add_f32 v[10:11], v[10:11], v[26:27] neg_lo:[0,1] neg_hi:[0,1]
	v_add_f32_e32 v10, v10, v11
	v_add_f32_e32 v10, v25, v10
	v_mul_f32_e32 v11, v23, v10
	v_add_f32_e32 v10, v28, v11
	v_sub_f32_e32 v13, v10, v28
	v_mul_f32_e32 v25, v10, v10
	v_sub_f32_e32 v13, v11, v13
	v_fma_f32 v11, v10, v10, -v25
	v_add_f32_e32 v24, v13, v13
	v_fmac_f32_e32 v11, v10, v24
	v_add_f32_e32 v24, v25, v11
	v_fmac_f32_e32 v21, 0x3e76c4e1, v24
	v_sub_f32_e32 v25, v24, v25
	v_fma_f32 v21, v24, v21, v16
	v_sub_f32_e32 v38, v11, v25
	v_mul_f32_e32 v11, v24, v21
	v_fma_f32 v25, v24, v21, -v11
	v_fmac_f32_e32 v25, v38, v21
	v_add_f32_e32 v21, v11, v25
	v_add_f32_e32 v27, 0x3f2aaaaa, v21
	v_sub_f32_e32 v11, v21, v11
	v_sub_f32_e32 v11, v25, v11
	v_add_f32_e32 v25, 0xbf2aaaaa, v27
	v_add_f32_e32 v11, 0x31739010, v11
	v_sub_f32_e32 v25, v21, v25
	v_pk_mul_f32 v[28:29], v[10:11], v[24:25]
	v_fma_f32 v26, v24, v10, -v28
	v_pk_add_f32 v[30:31], v[10:11], v[24:25]
	v_fmac_f32_e32 v26, v24, v13
	v_mov_b32_e32 v29, v31
	v_fmac_f32_e32 v26, v38, v10
	v_ldexp_f32 v23, v10, 1
	v_pk_add_f32 v[10:11], v[28:29], v[26:27]
	v_mov_b32_e32 v24, v11
	v_ldexp_f32 v37, v13, 1
	v_sub_f32_e32 v13, v10, v28
	v_sub_f32_e32 v21, v27, v11
	v_pk_mul_f32 v[24:25], v[10:11], v[24:25]
	v_sub_f32_e32 v13, v26, v13
	v_add_f32_e32 v21, v31, v21
	v_fma_f32 v26, v10, v11, -v24
	v_fmac_f32_e32 v26, v10, v21
	v_fmac_f32_e32 v26, v13, v11
	v_add_f32_e32 v13, v24, v26
	v_pk_add_f32 v[10:11], v[12:13], v[22:23]
	v_mov_b32_e32 v25, v23
	v_mov_b32_e32 v28, v13
	;; [unrolled: 1-line block ×4, first 2 shown]
	v_pk_add_f32 v[24:25], v[28:29], v[24:25] neg_lo:[0,1] neg_hi:[0,1]
	v_pk_add_f32 v[24:25], v[26:27], v[24:25] neg_lo:[0,1] neg_hi:[0,1]
	v_add_f32_e32 v13, v37, v24
	v_add_f32_e32 v13, v13, v25
	v_pk_add_f32 v[24:25], v[10:11], v[12:13] neg_lo:[0,1] neg_hi:[0,1]
	v_pk_add_f32 v[26:27], v[10:11], v[12:13]
	v_mov_b32_e32 v23, v10
	v_mov_b32_e32 v28, v24
	;; [unrolled: 1-line block ×3, first 2 shown]
	v_pk_add_f32 v[28:29], v[22:23], v[28:29]
	v_mov_b32_e32 v12, v29
	v_mov_b32_e32 v30, v11
	v_pk_add_f32 v[10:11], v[12:13], v[10:11] neg_lo:[0,1] neg_hi:[0,1]
	v_mov_b32_e32 v28, v27
	v_mov_b32_e32 v11, v10
	;; [unrolled: 1-line block ×3, first 2 shown]
	v_pk_add_f32 v[24:25], v[22:23], v[24:25] neg_lo:[0,1] neg_hi:[0,1]
	v_mov_b32_e32 v22, v13
	v_pk_add_f32 v[10:11], v[26:27], v[10:11] neg_lo:[0,1] neg_hi:[0,1]
	v_pk_add_f32 v[26:27], v[28:29], v[30:31] neg_lo:[0,1] neg_hi:[0,1]
	;; [unrolled: 1-line block ×3, first 2 shown]
	v_mov_b32_e32 v10, v24
	v_pk_add_f32 v[10:11], v[10:11], v[22:23]
	v_mov_b32_e32 v26, v11
	v_pk_add_f32 v[26:27], v[10:11], v[26:27]
	v_pk_add_f32 v[12:13], v[12:13], v[26:27]
	v_mov_b32_e32 v25, v29
	v_mov_b32_e32 v11, v12
	;; [unrolled: 1-line block ×3, first 2 shown]
	v_pk_add_f32 v[26:27], v[10:11], v[24:25] neg_lo:[0,1] neg_hi:[0,1]
	v_sub_f32_e32 v10, v10, v26
	v_pk_add_f32 v[22:23], v[22:23], v[26:27] neg_lo:[0,1] neg_hi:[0,1]
	v_sub_f32_e32 v10, v24, v10
	v_add_f32_e32 v10, v22, v10
	v_add_f32_e32 v10, v10, v23
	;; [unrolled: 1-line block ×3, first 2 shown]
	v_sub_f32_e32 v12, v11, v12
	v_mul_f32_e32 v13, v32, v11
	v_sub_f32_e32 v10, v10, v12
	v_fma_f32 v11, v32, v11, -v13
	v_fmac_f32_e32 v11, v32, v10
	v_add_f32_e32 v10, v13, v11
	v_cmp_class_f32_e64 s[4:5], v13, s26
	v_sub_f32_e32 v12, v10, v13
	v_cndmask_b32_e64 v10, v10, v13, s[4:5]
	v_cmp_eq_f32_e64 s[4:5], s28, v10
	v_sub_f32_e32 v11, v11, v12
	v_cndmask_b32_e64 v12, 0, v17, s[4:5]
	v_cmp_neq_f32_e64 s[4:5], |v10|, s27
	v_cndmask_b32_e64 v11, 0, v11, s[4:5]
	v_sub_f32_e32 v10, v10, v12
	v_add_f32_e32 v11, v12, v11
	v_mul_f32_e32 v12, 0x3fb8aa3b, v10
	v_fma_f32 v13, v10, s29, -v12
	v_rndne_f32_e32 v21, v12
	v_fmac_f32_e32 v13, 0x32a5705f, v10
	v_sub_f32_e32 v12, v12, v21
	v_add_f32_e32 v12, v12, v13
	v_cvt_i32_f32_e32 v21, v21
	v_exp_f32_e32 v12, v12
	v_cmp_ngt_f32_e64 s[4:5], s30, v10
	v_cmp_eq_f32_e64 s[0:1], s27, v33
	s_or_b64 s[0:1], s[0:1], s[2:3]
	v_ldexp_f32 v12, v12, v21
	v_cndmask_b32_e64 v12, 0, v12, s[4:5]
	v_cmp_nlt_f32_e64 s[4:5], s28, v10
	v_cndmask_b32_e64 v10, v18, v12, s[4:5]
	v_fma_f32 v11, v10, v11, v10
	v_cmp_class_f32_e64 s[4:5], v10, s26
	v_cndmask_b32_e64 v10, v11, v10, s[4:5]
	v_cmp_eq_f32_e64 s[4:5], s27, v34
	v_cndmask_b32_e64 v10, |v10|, v36, s[4:5]
	v_cndmask_b32_e64 v10, v10, v35, s[0:1]
	s_or_b64 s[18:19], vcc, s[18:19]
	v_cmp_o_f32_e32 vcc, v33, v32
	v_cndmask_b32_e32 v10, v19, v10, vcc
	v_add_f32_e32 v1, v1, v10
	s_andn2_b64 exec, exec, s[18:19]
	s_cbranch_execnz .LBB15_2
; %bb.3:
	s_or_b64 exec, exec, s[18:19]
.LBB15_4:
	s_or_b64 exec, exec, s[14:15]
	v_mbcnt_lo_u32_b32 v2, -1, 0
	v_mbcnt_hi_u32_b32 v7, -1, v2
	v_and_b32_e32 v9, 63, v7
	v_cmp_gt_u32_e32 vcc, 32, v9
	v_cndmask_b32_e64 v2, 0, 1, vcc
	v_lshlrev_b32_e32 v2, 5, v2
	v_add_lshl_u32 v2, v2, v7, 2
	ds_bpermute_b32 v3, v2, v1
	v_cmp_gt_u32_e32 vcc, 48, v9
	v_cndmask_b32_e64 v4, 0, 1, vcc
	v_lshlrev_b32_e32 v4, 4, v4
	v_cmp_gt_u32_e32 vcc, 56, v9
	s_waitcnt lgkmcnt(0)
	v_add_f32_e32 v1, v1, v3
	v_add_lshl_u32 v3, v4, v7, 2
	ds_bpermute_b32 v4, v3, v1
	v_cndmask_b32_e64 v5, 0, 1, vcc
	v_lshlrev_b32_e32 v5, 3, v5
	v_cmp_gt_u32_e32 vcc, 60, v9
	v_cndmask_b32_e64 v6, 0, 1, vcc
	s_waitcnt lgkmcnt(0)
	v_add_f32_e32 v1, v1, v4
	v_add_lshl_u32 v4, v5, v7, 2
	ds_bpermute_b32 v5, v4, v1
	v_lshlrev_b32_e32 v6, 2, v6
	v_cmp_gt_u32_e32 vcc, 62, v9
	v_cndmask_b32_e64 v8, 0, 1, vcc
	v_lshlrev_b32_e32 v8, 1, v8
	s_waitcnt lgkmcnt(0)
	v_add_f32_e32 v1, v1, v5
	v_add_lshl_u32 v5, v6, v7, 2
	ds_bpermute_b32 v6, v5, v1
	v_cmp_ne_u32_e32 vcc, 63, v9
	s_waitcnt lgkmcnt(0)
	s_barrier
	v_add_f32_e32 v1, v1, v6
	v_add_lshl_u32 v6, v8, v7, 2
	ds_bpermute_b32 v10, v6, v1
	v_addc_co_u32_e32 v7, vcc, 0, v7, vcc
	v_lshlrev_b32_e32 v7, 2, v7
	v_and_b32_e32 v8, 63, v0
	s_waitcnt lgkmcnt(0)
	v_add_f32_e32 v1, v1, v10
	ds_bpermute_b32 v9, v7, v1
	v_cmp_eq_u32_e32 vcc, 0, v8
	s_and_saveexec_b64 s[0:1], vcc
	s_cbranch_execz .LBB15_6
; %bb.5:
	s_waitcnt lgkmcnt(0)
	v_add_f32_e32 v1, v1, v9
	v_lshrrev_b32_e32 v9, 4, v0
	ds_write_b32 v9, v1
.LBB15_6:
	s_or_b64 exec, exec, s[0:1]
	s_lshr_b32 s0, s25, 6
	v_cmp_gt_u32_e32 vcc, s0, v0
	v_mov_b32_e32 v1, 0
	s_waitcnt lgkmcnt(0)
	s_barrier
	s_and_saveexec_b64 s[0:1], vcc
	s_cbranch_execnz .LBB15_10
; %bb.7:
	s_or_b64 exec, exec, s[0:1]
	v_cmp_gt_u32_e32 vcc, 64, v0
	s_and_saveexec_b64 s[0:1], vcc
	s_cbranch_execnz .LBB15_11
.LBB15_8:
	s_or_b64 exec, exec, s[0:1]
	v_cmp_eq_u32_e32 vcc, 0, v0
	s_and_saveexec_b64 s[0:1], vcc
	s_cbranch_execnz .LBB15_12
.LBB15_9:
	s_endpgm
.LBB15_10:
	v_lshlrev_b32_e32 v1, 2, v8
	ds_read_b32 v1, v1
	s_or_b64 exec, exec, s[0:1]
	v_cmp_gt_u32_e32 vcc, 64, v0
	s_and_saveexec_b64 s[0:1], vcc
	s_cbranch_execz .LBB15_8
.LBB15_11:
	s_waitcnt lgkmcnt(0)
	ds_bpermute_b32 v2, v2, v1
	s_waitcnt lgkmcnt(0)
	v_add_f32_e32 v1, v1, v2
	ds_bpermute_b32 v2, v3, v1
	s_waitcnt lgkmcnt(0)
	v_add_f32_e32 v1, v1, v2
	;; [unrolled: 3-line block ×6, first 2 shown]
	s_or_b64 exec, exec, s[0:1]
	v_cmp_eq_u32_e32 vcc, 0, v0
	s_and_saveexec_b64 s[0:1], vcc
	s_cbranch_execz .LBB15_9
.LBB15_12:
	v_div_scale_f32 v0, s[0:1], s24, s24, 1.0
	v_rcp_f32_e32 v2, v0
	v_div_scale_f32 v3, vcc, 1.0, s24, 1.0
	s_mov_b32 s2, 0x3f2aaaab
	v_fma_f32 v4, -v0, v2, 1.0
	v_fmac_f32_e32 v2, v4, v2
	v_mul_f32_e32 v4, v3, v2
	v_fma_f32 v5, -v0, v4, v3
	v_fmac_f32_e32 v4, v5, v2
	v_fma_f32 v0, -v0, v4, v3
	v_div_fmas_f32 v0, v0, v2, v4
	v_div_fixup_f32 v18, v0, s24, 1.0
	s_waitcnt lgkmcnt(0)
	v_cmp_eq_f32_e32 vcc, 1.0, v1
	v_cndmask_b32_e64 v19, v18, 1.0, vcc
	v_cmp_eq_f32_e64 s[0:1], 0, v19
	v_cndmask_b32_e64 v20, |v1|, 1.0, s[0:1]
	v_frexp_mant_f32_e32 v0, v20
	v_cmp_gt_f32_e64 s[2:3], s2, v0
	v_cndmask_b32_e64 v2, 1.0, 2.0, s[2:3]
	v_mul_f32_e32 v0, v0, v2
	v_add_f32_e32 v2, 1.0, v0
	v_rcp_f32_e32 v10, v2
	v_add_f32_e32 v3, -1.0, v2
	v_sub_f32_e32 v5, v0, v3
	v_add_f32_e32 v3, -1.0, v0
	v_mul_f32_e32 v0, v3, v10
	v_mul_f32_e32 v4, v2, v0
	v_fma_f32 v6, v0, v2, -v4
	v_fmac_f32_e32 v6, v0, v5
	v_add_f32_e32 v2, v4, v6
	v_sub_f32_e32 v5, v3, v2
	v_pk_add_f32 v[8:9], v[2:3], v[4:5] neg_lo:[0,1] neg_hi:[0,1]
	v_mov_b32_e32 v7, v2
	v_pk_add_f32 v[2:3], v[8:9], v[6:7] neg_lo:[0,1] neg_hi:[0,1]
	v_add_f32_e32 v2, v2, v3
	v_add_f32_e32 v2, v5, v2
	v_mul_f32_e32 v3, v10, v2
	v_add_f32_e32 v2, v0, v3
	v_sub_f32_e32 v0, v2, v0
	v_sub_f32_e32 v12, v3, v0
	v_mul_f32_e32 v0, v2, v2
	v_fma_f32 v3, v2, v2, -v0
	v_add_f32_e32 v4, v12, v12
	v_fmac_f32_e32 v3, v2, v4
	v_add_f32_e32 v4, v0, v3
	v_mov_b32_e32 v5, 0x3e91f4c4
	v_fmac_f32_e32 v5, 0x3e76c4e1, v4
	v_mov_b32_e32 v6, 0x3ecccdef
	v_fmac_f32_e32 v6, v4, v5
	v_sub_f32_e32 v0, v4, v0
	v_sub_f32_e32 v0, v3, v0
	v_mul_f32_e32 v3, v4, v6
	v_fma_f32 v5, v4, v6, -v3
	v_fmac_f32_e32 v5, v0, v6
	v_add_f32_e32 v6, v3, v5
	v_add_f32_e32 v7, 0x3f2aaaaa, v6
	v_sub_f32_e32 v3, v6, v3
	v_sub_f32_e32 v3, v5, v3
	v_add_f32_e32 v5, 0xbf2aaaaa, v7
	v_add_f32_e32 v3, 0x31739010, v3
	v_sub_f32_e32 v5, v6, v5
	v_pk_mul_f32 v[8:9], v[2:3], v[4:5]
	v_fma_f32 v6, v4, v2, -v8
	v_pk_add_f32 v[10:11], v[2:3], v[4:5]
	v_fmac_f32_e32 v6, v4, v12
	v_mov_b32_e32 v9, v11
	v_fmac_f32_e32 v6, v0, v2
	v_pk_add_f32 v[4:5], v[8:9], v[6:7]
	v_sub_f32_e32 v0, v4, v8
	v_sub_f32_e32 v3, v6, v0
	;; [unrolled: 1-line block ×3, first 2 shown]
	v_add_f32_e32 v9, v11, v0
	v_mov_b32_e32 v0, v5
	v_cvt_f64_f32_e32 v[10:11], v20
	v_pk_mul_f32 v[6:7], v[4:5], v[0:1]
	v_frexp_exp_i32_f64_e32 v0, v[10:11]
	v_subbrev_co_u32_e64 v0, s[2:3], 0, v0, s[2:3]
	v_cvt_f32_i32_e32 v0, v0
	v_fma_f32 v8, v4, v5, -v6
	v_fmac_f32_e32 v8, v4, v9
	s_mov_b32 s2, 0x3f317218
	v_mul_f32_e32 v4, 0x3f317218, v0
	v_fmac_f32_e32 v8, v3, v5
	v_fma_f32 v10, v0, s2, -v4
	v_fmac_f32_e32 v10, 0xb102e308, v0
	v_ldexp_f32 v11, v2, 1
	v_add_f32_e32 v5, v6, v8
	v_pk_add_f32 v[2:3], v[4:5], v[10:11]
	v_ldexp_f32 v0, v12, 1
	v_mov_b32_e32 v12, v5
	v_mov_b32_e32 v13, v3
	;; [unrolled: 1-line block ×3, first 2 shown]
	v_pk_add_f32 v[6:7], v[12:13], v[6:7] neg_lo:[0,1] neg_hi:[0,1]
	v_mov_b32_e32 v9, v5
	v_pk_add_f32 v[6:7], v[8:9], v[6:7] neg_lo:[0,1] neg_hi:[0,1]
	v_add_f32_e32 v0, v0, v6
	v_add_f32_e32 v5, v0, v7
	v_pk_add_f32 v[6:7], v[2:3], v[4:5] neg_lo:[0,1] neg_hi:[0,1]
	v_pk_add_f32 v[8:9], v[2:3], v[4:5]
	v_mov_b32_e32 v12, v6
	v_mov_b32_e32 v13, v9
	;; [unrolled: 1-line block ×3, first 2 shown]
	v_pk_add_f32 v[12:13], v[10:11], v[12:13]
	v_mov_b32_e32 v0, v13
	v_pk_add_f32 v[14:15], v[0:1], v[2:3] neg_lo:[0,1] neg_hi:[0,1]
	v_mov_b32_e32 v15, v14
	v_mov_b32_e32 v12, v9
	;; [unrolled: 1-line block ×4, first 2 shown]
	v_pk_add_f32 v[6:7], v[10:11], v[6:7] neg_lo:[0,1] neg_hi:[0,1]
	v_pk_add_f32 v[16:17], v[8:9], v[14:15] neg_lo:[0,1] neg_hi:[0,1]
	;; [unrolled: 1-line block ×3, first 2 shown]
	v_mov_b32_e32 v10, v5
	v_pk_add_f32 v[2:3], v[10:11], v[2:3] neg_lo:[0,1] neg_hi:[0,1]
	v_mov_b32_e32 v16, v6
	v_pk_add_f32 v[4:5], v[16:17], v[2:3]
	v_mov_b32_e32 v8, v5
	v_pk_add_f32 v[8:9], v[4:5], v[8:9]
	v_pk_add_f32 v[10:11], v[0:1], v[8:9]
	v_mov_b32_e32 v7, v13
	v_mov_b32_e32 v5, v10
	v_pk_add_f32 v[12:13], v[4:5], v[6:7] neg_lo:[0,1] neg_hi:[0,1]
	v_mov_b32_e32 v3, v8
	v_sub_f32_e32 v0, v4, v12
	v_pk_add_f32 v[2:3], v[2:3], v[12:13] neg_lo:[0,1] neg_hi:[0,1]
	v_sub_f32_e32 v0, v6, v0
	v_add_f32_e32 v0, v2, v0
	v_add_f32_e32 v0, v0, v3
	;; [unrolled: 1-line block ×3, first 2 shown]
	v_sub_f32_e32 v3, v2, v10
	v_sub_f32_e32 v0, v0, v3
	v_mul_f32_e32 v3, v19, v2
	v_fma_f32 v2, v19, v2, -v3
	v_fmac_f32_e32 v2, v19, v0
	s_movk_i32 s4, 0x204
	v_add_f32_e32 v0, v3, v2
	v_cmp_class_f32_e64 s[2:3], v3, s4
	v_sub_f32_e32 v4, v0, v3
	v_cndmask_b32_e64 v0, v0, v3, s[2:3]
	s_mov_b32 s8, 0x42b17218
	v_mov_b32_e32 v3, 0x37000000
	v_cmp_eq_f32_e64 s[2:3], s8, v0
	v_cndmask_b32_e64 v3, 0, v3, s[2:3]
	v_sub_f32_e32 v2, v2, v4
	v_sub_f32_e32 v4, v0, v3
	s_mov_b32 s2, 0x3fb8aa3b
	v_mul_f32_e32 v5, 0x3fb8aa3b, v4
	v_fma_f32 v6, v4, s2, -v5
	v_rndne_f32_e32 v7, v5
	v_fmac_f32_e32 v6, 0x32a5705f, v4
	v_sub_f32_e32 v5, v5, v7
	v_add_f32_e32 v5, v5, v6
	v_exp_f32_e32 v5, v5
	v_cvt_i32_f32_e32 v6, v7
	s_mov_b32 s5, 0x7f800000
	v_cmp_neq_f32_e64 s[2:3], |v0|, s5
	v_cndmask_b32_e64 v0, 0, v2, s[2:3]
	s_mov_b32 s2, 0xc2ce8ed0
	v_ldexp_f32 v2, v5, v6
	v_cmp_ngt_f32_e64 s[2:3], s2, v4
	v_add_f32_e32 v0, v3, v0
	v_cndmask_b32_e64 v2, 0, v2, s[2:3]
	v_mov_b32_e32 v3, 0x7f800000
	v_cmp_nlt_f32_e64 s[2:3], s8, v4
	v_cndmask_b32_e64 v2, v3, v2, s[2:3]
	v_fma_f32 v0, v2, v0, v2
	v_cmp_class_f32_e64 s[2:3], v2, s4
	v_cndmask_b32_e64 v0, v0, v2, s[2:3]
	v_trunc_f32_e32 v2, v19
	v_cndmask_b32_e64 v1, v1, 1.0, s[0:1]
	v_cmp_eq_f32_e64 s[0:1], v2, v19
	v_mul_f32_e32 v2, 0.5, v19
	v_trunc_f32_e32 v5, v2
	v_cmp_neq_f32_e64 s[2:3], v5, v2
	s_and_b64 s[2:3], s[0:1], s[2:3]
	v_cndmask_b32_e64 v2, 1.0, v1, s[2:3]
	s_brev_b32 s8, -2
	v_mov_b32_e32 v4, 0x7fc00000
	v_bfi_b32 v0, s8, v0, v2
	v_cndmask_b32_e64 v2, v4, v0, s[0:1]
	v_cmp_gt_f32_e64 s[0:1], 0, v1
	v_cndmask_b32_e64 v0, v0, v2, s[0:1]
	v_cndmask_b32_e64 v2, |v18|, 1.0, vcc
	v_cmp_neq_f32_e32 vcc, v19, v2
	v_cmp_gt_f32_e64 s[0:1], 1.0, v20
	s_xor_b64 s[0:1], vcc, s[0:1]
	v_cndmask_b32_e64 v5, v2, 0, s[0:1]
	v_cmp_eq_f32_e32 vcc, 1.0, v20
	v_cndmask_b32_e32 v5, v5, v20, vcc
	v_cmp_eq_f32_e32 vcc, s5, v2
	v_cndmask_b32_e32 v0, v0, v5, vcc
	v_cmp_eq_f32_e32 vcc, s5, v20
	v_cmp_eq_f32_e64 s[0:1], 0, v1
	v_cmp_gt_f32_e64 s[4:5], 0, v19
	s_xor_b64 s[4:5], s[4:5], s[0:1]
	v_cndmask_b32_e64 v2, v3, 0, s[4:5]
	v_cndmask_b32_e64 v3, 0, v1, s[2:3]
	v_bfi_b32 v2, s8, v2, v3
	s_or_b64 vcc, vcc, s[0:1]
	s_lshl_b64 s[0:1], s[6:7], 2
	v_cndmask_b32_e32 v0, v0, v2, vcc
	v_cmp_o_f32_e32 vcc, v1, v19
	s_add_u32 s0, s16, s0
	v_cndmask_b32_e32 v0, v4, v0, vcc
	s_addc_u32 s1, s17, s1
	v_mov_b32_e32 v1, 0
	global_store_dword v1, v0, s[0:1]
	s_endpgm
	.section	.rodata,"a",@progbits
	.p2align	6, 0x0
	.amdhsa_kernel _ZN2at6native12_GLOBAL__N_122pdist_kernel_cuda_implIfNS1_5distsIfE1pEEEvPT_PKS6_llS6_dd
		.amdhsa_group_segment_fixed_size 1024
		.amdhsa_private_segment_fixed_size 0
		.amdhsa_kernarg_size 312
		.amdhsa_user_sgpr_count 6
		.amdhsa_user_sgpr_private_segment_buffer 1
		.amdhsa_user_sgpr_dispatch_ptr 0
		.amdhsa_user_sgpr_queue_ptr 0
		.amdhsa_user_sgpr_kernarg_segment_ptr 1
		.amdhsa_user_sgpr_dispatch_id 0
		.amdhsa_user_sgpr_flat_scratch_init 0
		.amdhsa_user_sgpr_kernarg_preload_length 0
		.amdhsa_user_sgpr_kernarg_preload_offset 0
		.amdhsa_user_sgpr_private_segment_size 0
		.amdhsa_uses_dynamic_stack 0
		.amdhsa_system_sgpr_private_segment_wavefront_offset 0
		.amdhsa_system_sgpr_workgroup_id_x 1
		.amdhsa_system_sgpr_workgroup_id_y 0
		.amdhsa_system_sgpr_workgroup_id_z 0
		.amdhsa_system_sgpr_workgroup_info 0
		.amdhsa_system_vgpr_workitem_id 0
		.amdhsa_next_free_vgpr 39
		.amdhsa_next_free_sgpr 32
		.amdhsa_accum_offset 40
		.amdhsa_reserve_vcc 1
		.amdhsa_reserve_flat_scratch 0
		.amdhsa_float_round_mode_32 0
		.amdhsa_float_round_mode_16_64 0
		.amdhsa_float_denorm_mode_32 3
		.amdhsa_float_denorm_mode_16_64 3
		.amdhsa_dx10_clamp 1
		.amdhsa_ieee_mode 1
		.amdhsa_fp16_overflow 0
		.amdhsa_tg_split 0
		.amdhsa_exception_fp_ieee_invalid_op 0
		.amdhsa_exception_fp_denorm_src 0
		.amdhsa_exception_fp_ieee_div_zero 0
		.amdhsa_exception_fp_ieee_overflow 0
		.amdhsa_exception_fp_ieee_underflow 0
		.amdhsa_exception_fp_ieee_inexact 0
		.amdhsa_exception_int_div_zero 0
	.end_amdhsa_kernel
	.section	.text._ZN2at6native12_GLOBAL__N_122pdist_kernel_cuda_implIfNS1_5distsIfE1pEEEvPT_PKS6_llS6_dd,"axG",@progbits,_ZN2at6native12_GLOBAL__N_122pdist_kernel_cuda_implIfNS1_5distsIfE1pEEEvPT_PKS6_llS6_dd,comdat
.Lfunc_end15:
	.size	_ZN2at6native12_GLOBAL__N_122pdist_kernel_cuda_implIfNS1_5distsIfE1pEEEvPT_PKS6_llS6_dd, .Lfunc_end15-_ZN2at6native12_GLOBAL__N_122pdist_kernel_cuda_implIfNS1_5distsIfE1pEEEvPT_PKS6_llS6_dd
                                        ; -- End function
	.section	.AMDGPU.csdata,"",@progbits
; Kernel info:
; codeLenInByte = 3380
; NumSgprs: 36
; NumVgprs: 39
; NumAgprs: 0
; TotalNumVgprs: 39
; ScratchSize: 0
; MemoryBound: 0
; FloatMode: 240
; IeeeMode: 1
; LDSByteSize: 1024 bytes/workgroup (compile time only)
; SGPRBlocks: 4
; VGPRBlocks: 4
; NumSGPRsForWavesPerEU: 36
; NumVGPRsForWavesPerEU: 39
; AccumOffset: 40
; Occupancy: 8
; WaveLimiterHint : 0
; COMPUTE_PGM_RSRC2:SCRATCH_EN: 0
; COMPUTE_PGM_RSRC2:USER_SGPR: 6
; COMPUTE_PGM_RSRC2:TRAP_HANDLER: 0
; COMPUTE_PGM_RSRC2:TGID_X_EN: 1
; COMPUTE_PGM_RSRC2:TGID_Y_EN: 0
; COMPUTE_PGM_RSRC2:TGID_Z_EN: 0
; COMPUTE_PGM_RSRC2:TIDIG_COMP_CNT: 0
; COMPUTE_PGM_RSRC3_GFX90A:ACCUM_OFFSET: 9
; COMPUTE_PGM_RSRC3_GFX90A:TG_SPLIT: 0
	.section	.text._ZN2at6native12_GLOBAL__N_122pdist_kernel_cuda_implIfNS1_5distsIfE4zeroEEEvPT_PKS6_llS6_dd,"axG",@progbits,_ZN2at6native12_GLOBAL__N_122pdist_kernel_cuda_implIfNS1_5distsIfE4zeroEEEvPT_PKS6_llS6_dd,comdat
	.globl	_ZN2at6native12_GLOBAL__N_122pdist_kernel_cuda_implIfNS1_5distsIfE4zeroEEEvPT_PKS6_llS6_dd ; -- Begin function _ZN2at6native12_GLOBAL__N_122pdist_kernel_cuda_implIfNS1_5distsIfE4zeroEEEvPT_PKS6_llS6_dd
	.p2align	8
	.type	_ZN2at6native12_GLOBAL__N_122pdist_kernel_cuda_implIfNS1_5distsIfE4zeroEEEvPT_PKS6_llS6_dd,@function
_ZN2at6native12_GLOBAL__N_122pdist_kernel_cuda_implIfNS1_5distsIfE4zeroEEEvPT_PKS6_llS6_dd: ; @_ZN2at6native12_GLOBAL__N_122pdist_kernel_cuda_implIfNS1_5distsIfE4zeroEEEvPT_PKS6_llS6_dd
; %bb.0:
	s_load_dword s0, s[4:5], 0x44
	s_load_dwordx8 s[8:15], s[4:5], 0x0
	v_mov_b32_e32 v1, 0
	s_mov_b32 s7, 0
	s_waitcnt lgkmcnt(0)
	s_and_b32 s16, s0, 0xffff
	v_cmp_gt_i64_e32 vcc, s[14:15], v[0:1]
	s_and_saveexec_b64 s[0:1], vcc
	s_cbranch_execz .LBB16_8
; %bb.1:
	s_load_dwordx4 s[20:23], s[4:5], 0x28
	s_lshl_b64 s[2:3], s[6:7], 1
	v_cvt_f64_u32_e32 v[2:3], s3
	v_ldexp_f64 v[2:3], v[2:3], 32
	v_cvt_f64_u32_e32 v[4:5], s2
	v_add_f64 v[2:3], v[2:3], v[4:5]
	s_mov_b32 s2, 0
	s_waitcnt lgkmcnt(0)
	v_add_f64 v[2:3], s[22:23], -v[2:3]
	s_brev_b32 s3, 8
	v_cmp_gt_f64_e32 vcc, s[2:3], v[2:3]
	v_cndmask_b32_e64 v1, 0, 1, vcc
	v_lshlrev_b32_e32 v1, 8, v1
	v_ldexp_f64 v[2:3], v[2:3], v1
	v_rsq_f64_e32 v[4:5], v[2:3]
	s_and_b64 s[2:3], vcc, exec
	s_cselect_b32 s2, 0xffffff80, 0
	v_mov_b32_e32 v1, 0x260
	v_mul_f64 v[6:7], v[2:3], v[4:5]
	v_mul_f64 v[4:5], v[4:5], 0.5
	v_fma_f64 v[8:9], -v[4:5], v[6:7], 0.5
	v_fmac_f64_e32 v[6:7], v[6:7], v[8:9]
	v_fma_f64 v[10:11], -v[6:7], v[6:7], v[2:3]
	v_fmac_f64_e32 v[4:5], v[4:5], v[8:9]
	v_fmac_f64_e32 v[6:7], v[10:11], v[4:5]
	v_fma_f64 v[8:9], -v[6:7], v[6:7], v[2:3]
	v_fmac_f64_e32 v[6:7], v[8:9], v[4:5]
	v_ldexp_f64 v[4:5], v[6:7], s2
	v_cmp_class_f64_e32 vcc, v[2:3], v1
	v_cndmask_b32_e32 v3, v5, v3, vcc
	v_cndmask_b32_e32 v2, v4, v2, vcc
	v_add_f64 v[2:3], s[20:21], -v[2:3]
	v_trunc_f64_e32 v[2:3], v[2:3]
	s_movk_i32 s2, 0xffe0
	v_ldexp_f64 v[4:5], v[2:3], s2
	v_floor_f64_e32 v[4:5], v[4:5]
	v_fmac_f64_e32 v[2:3], 0xc1f00000, v[4:5]
	v_cvt_u32_f64_e32 v1, v[2:3]
	v_cvt_i32_f64_e32 v2, v[4:5]
	v_mul_lo_u32 v3, v1, s15
	v_mul_hi_u32 v4, v1, s14
	v_readfirstlane_b32 s5, v2
	v_add_u32_e32 v3, v4, v3
	v_mul_lo_u32 v2, v2, s14
	v_add_u32_e32 v3, v3, v2
	v_mul_lo_u32 v2, v1, s14
	v_lshlrev_b64 v[2:3], 2, v[2:3]
	v_readfirstlane_b32 s4, v1
	v_mov_b32_e32 v1, s11
	v_add_co_u32_e32 v6, vcc, s10, v2
	v_addc_co_u32_e32 v1, vcc, v1, v3, vcc
	s_lshl_b64 s[2:3], s[14:15], 2
	v_add_co_u32_e32 v4, vcc, s2, v6
	s_add_u32 s2, s4, 1
	v_mov_b32_e32 v5, s3
	s_addc_u32 s3, s5, 0
	s_add_u32 s17, s2, s6
	s_mul_i32 s13, s4, s13
	s_mul_hi_u32 s19, s4, s12
	s_addc_u32 s18, s3, 0
	s_add_i32 s13, s19, s13
	s_mul_i32 s19, s5, s12
	s_add_i32 s13, s13, s19
	s_mul_i32 s12, s4, s12
	s_sub_u32 s12, s17, s12
	s_mul_hi_u32 s17, s2, s4
	s_mul_i32 s5, s2, s5
	s_subb_u32 s13, s18, s13
	s_mul_i32 s3, s3, s4
	s_add_i32 s5, s17, s5
	s_add_i32 s5, s5, s3
	s_mul_i32 s2, s2, s4
	s_lshr_b32 s3, s5, 31
	s_add_u32 s2, s2, s3
	s_addc_u32 s3, s5, 0
	s_ashr_i64 s[2:3], s[2:3], 1
	s_add_u32 s2, s12, s2
	s_addc_u32 s3, s13, s3
	v_addc_co_u32_e32 v5, vcc, v1, v5, vcc
	v_lshlrev_b32_e32 v8, 2, v0
	s_mul_i32 s3, s14, s3
	s_mul_hi_u32 s4, s14, s2
	v_add_co_u32_e32 v6, vcc, v6, v8
	s_add_i32 s3, s4, s3
	s_mul_i32 s4, s15, s2
	v_addc_co_u32_e32 v7, vcc, 0, v1, vcc
	s_add_i32 s3, s3, s4
	s_mul_i32 s2, s14, s2
	s_lshl_b64 s[2:3], s[2:3], 2
	v_mov_b32_e32 v1, s11
	v_add_co_u32_e32 v8, vcc, s10, v8
	v_addc_co_u32_e32 v9, vcc, 0, v1, vcc
	s_lshl_b32 s14, s16, 2
	s_mov_b64 s[4:5], 0
	v_mov_b32_e32 v12, 0
	v_mov_b32_e32 v10, s3
	s_lshl_b32 s3, s16, 2
	v_mov_b32_e32 v11, s7
	s_mov_b32 s10, s7
	s_branch .LBB16_4
.LBB16_2:                               ;   in Loop: Header=BB16_4 Depth=1
	s_or_b64 exec, exec, s[12:13]
	v_mov_b32_e32 v1, v12
.LBB16_3:                               ;   in Loop: Header=BB16_4 Depth=1
	s_or_b64 exec, exec, s[10:11]
	v_add_co_u32_e32 v6, vcc, s3, v6
	v_addc_co_u32_e32 v7, vcc, 0, v7, vcc
	v_add_co_u32_e32 v8, vcc, s14, v8
	v_addc_co_u32_e32 v9, vcc, v9, v11, vcc
	v_cmp_ge_u64_e32 vcc, v[6:7], v[4:5]
	s_or_b64 s[4:5], vcc, s[4:5]
	v_mov_b32_e32 v12, v1
	s_andn2_b64 exec, exec, s[4:5]
	s_cbranch_execz .LBB16_7
.LBB16_4:                               ; =>This Inner Loop Header: Depth=1
	v_add_co_u32_e32 v14, vcc, s2, v8
	v_addc_co_u32_e32 v15, vcc, v9, v10, vcc
	v_add_co_u32_e32 v16, vcc, v8, v2
	v_addc_co_u32_e32 v17, vcc, v9, v3, vcc
	global_load_dword v1, v[16:17], off
	global_load_dword v13, v[14:15], off
	s_waitcnt vmcnt(0)
	v_sub_f32_e32 v13, v1, v13
	v_and_b32_e32 v1, 0x7fffffff, v13
	v_cmp_o_f32_e32 vcc, v13, v13
	s_and_saveexec_b64 s[10:11], vcc
	s_cbranch_execz .LBB16_3
; %bb.5:                                ;   in Loop: Header=BB16_4 Depth=1
	v_cmp_neq_f32_e32 vcc, 0, v13
	s_and_saveexec_b64 s[12:13], vcc
	s_cbranch_execz .LBB16_2
; %bb.6:                                ;   in Loop: Header=BB16_4 Depth=1
	v_add_f32_e32 v12, 1.0, v12
	s_branch .LBB16_2
.LBB16_7:
	s_or_b64 exec, exec, s[4:5]
.LBB16_8:
	s_or_b64 exec, exec, s[0:1]
	v_mbcnt_lo_u32_b32 v2, -1, 0
	v_mbcnt_hi_u32_b32 v6, -1, v2
	v_and_b32_e32 v9, 63, v6
	v_cmp_gt_u32_e32 vcc, 32, v9
	v_cndmask_b32_e64 v2, 0, 1, vcc
	v_lshlrev_b32_e32 v2, 5, v2
	v_add_lshl_u32 v2, v2, v6, 2
	ds_bpermute_b32 v3, v2, v1
	v_cmp_gt_u32_e32 vcc, 48, v9
	v_cndmask_b32_e64 v4, 0, 1, vcc
	v_lshlrev_b32_e32 v4, 4, v4
	v_cmp_gt_u32_e32 vcc, 56, v9
	s_waitcnt lgkmcnt(0)
	v_add_f32_e32 v3, v1, v3
	v_add_lshl_u32 v1, v4, v6, 2
	ds_bpermute_b32 v4, v1, v3
	v_cndmask_b32_e64 v5, 0, 1, vcc
	v_lshlrev_b32_e32 v5, 3, v5
	v_cmp_gt_u32_e32 vcc, 60, v9
	v_cndmask_b32_e64 v7, 0, 1, vcc
	s_waitcnt lgkmcnt(0)
	v_add_f32_e32 v4, v3, v4
	v_add_lshl_u32 v3, v5, v6, 2
	ds_bpermute_b32 v5, v3, v4
	v_lshlrev_b32_e32 v7, 2, v7
	v_cmp_gt_u32_e32 vcc, 62, v9
	v_cndmask_b32_e64 v8, 0, 1, vcc
	v_lshlrev_b32_e32 v8, 1, v8
	s_waitcnt lgkmcnt(0)
	v_add_f32_e32 v5, v4, v5
	v_add_lshl_u32 v4, v7, v6, 2
	ds_bpermute_b32 v7, v4, v5
	v_cmp_ne_u32_e32 vcc, 63, v9
	s_waitcnt lgkmcnt(0)
	s_barrier
	v_add_f32_e32 v7, v5, v7
	v_add_lshl_u32 v5, v8, v6, 2
	ds_bpermute_b32 v10, v5, v7
	v_addc_co_u32_e32 v6, vcc, 0, v6, vcc
	v_lshlrev_b32_e32 v6, 2, v6
	v_and_b32_e32 v8, 63, v0
	s_waitcnt lgkmcnt(0)
	v_add_f32_e32 v7, v7, v10
	ds_bpermute_b32 v9, v6, v7
	v_cmp_eq_u32_e32 vcc, 0, v8
	s_and_saveexec_b64 s[0:1], vcc
	s_cbranch_execz .LBB16_10
; %bb.9:
	s_waitcnt lgkmcnt(0)
	v_add_f32_e32 v7, v7, v9
	v_lshrrev_b32_e32 v9, 4, v0
	ds_write_b32 v9, v7
.LBB16_10:
	s_or_b64 exec, exec, s[0:1]
	s_lshr_b32 s0, s16, 6
	v_cmp_gt_u32_e32 vcc, s0, v0
	v_mov_b32_e32 v7, 0
	s_waitcnt lgkmcnt(0)
	s_barrier
	s_and_saveexec_b64 s[0:1], vcc
	s_cbranch_execnz .LBB16_14
; %bb.11:
	s_or_b64 exec, exec, s[0:1]
	v_cmp_gt_u32_e32 vcc, 64, v0
	s_and_saveexec_b64 s[0:1], vcc
	s_cbranch_execnz .LBB16_15
.LBB16_12:
	s_or_b64 exec, exec, s[0:1]
	v_cmp_eq_u32_e32 vcc, 0, v0
	s_and_saveexec_b64 s[0:1], vcc
	s_cbranch_execnz .LBB16_16
.LBB16_13:
	s_endpgm
.LBB16_14:
	v_lshlrev_b32_e32 v7, 2, v8
	ds_read_b32 v7, v7
	s_or_b64 exec, exec, s[0:1]
	v_cmp_gt_u32_e32 vcc, 64, v0
	s_and_saveexec_b64 s[0:1], vcc
	s_cbranch_execz .LBB16_12
.LBB16_15:
	s_waitcnt lgkmcnt(0)
	ds_bpermute_b32 v2, v2, v7
	s_waitcnt lgkmcnt(0)
	v_add_f32_e32 v2, v7, v2
	ds_bpermute_b32 v1, v1, v2
	s_waitcnt lgkmcnt(0)
	v_add_f32_e32 v1, v2, v1
	;; [unrolled: 3-line block ×6, first 2 shown]
	s_or_b64 exec, exec, s[0:1]
	v_cmp_eq_u32_e32 vcc, 0, v0
	s_and_saveexec_b64 s[0:1], vcc
	s_cbranch_execz .LBB16_13
.LBB16_16:
	s_lshl_b64 s[0:1], s[6:7], 2
	s_add_u32 s0, s8, s0
	s_addc_u32 s1, s9, s1
	v_mov_b32_e32 v0, 0
	s_waitcnt lgkmcnt(0)
	global_store_dword v0, v7, s[0:1]
	s_endpgm
	.section	.rodata,"a",@progbits
	.p2align	6, 0x0
	.amdhsa_kernel _ZN2at6native12_GLOBAL__N_122pdist_kernel_cuda_implIfNS1_5distsIfE4zeroEEEvPT_PKS6_llS6_dd
		.amdhsa_group_segment_fixed_size 1024
		.amdhsa_private_segment_fixed_size 0
		.amdhsa_kernarg_size 312
		.amdhsa_user_sgpr_count 6
		.amdhsa_user_sgpr_private_segment_buffer 1
		.amdhsa_user_sgpr_dispatch_ptr 0
		.amdhsa_user_sgpr_queue_ptr 0
		.amdhsa_user_sgpr_kernarg_segment_ptr 1
		.amdhsa_user_sgpr_dispatch_id 0
		.amdhsa_user_sgpr_flat_scratch_init 0
		.amdhsa_user_sgpr_kernarg_preload_length 0
		.amdhsa_user_sgpr_kernarg_preload_offset 0
		.amdhsa_user_sgpr_private_segment_size 0
		.amdhsa_uses_dynamic_stack 0
		.amdhsa_system_sgpr_private_segment_wavefront_offset 0
		.amdhsa_system_sgpr_workgroup_id_x 1
		.amdhsa_system_sgpr_workgroup_id_y 0
		.amdhsa_system_sgpr_workgroup_id_z 0
		.amdhsa_system_sgpr_workgroup_info 0
		.amdhsa_system_vgpr_workitem_id 0
		.amdhsa_next_free_vgpr 18
		.amdhsa_next_free_sgpr 24
		.amdhsa_accum_offset 20
		.amdhsa_reserve_vcc 1
		.amdhsa_reserve_flat_scratch 0
		.amdhsa_float_round_mode_32 0
		.amdhsa_float_round_mode_16_64 0
		.amdhsa_float_denorm_mode_32 3
		.amdhsa_float_denorm_mode_16_64 3
		.amdhsa_dx10_clamp 1
		.amdhsa_ieee_mode 1
		.amdhsa_fp16_overflow 0
		.amdhsa_tg_split 0
		.amdhsa_exception_fp_ieee_invalid_op 0
		.amdhsa_exception_fp_denorm_src 0
		.amdhsa_exception_fp_ieee_div_zero 0
		.amdhsa_exception_fp_ieee_overflow 0
		.amdhsa_exception_fp_ieee_underflow 0
		.amdhsa_exception_fp_ieee_inexact 0
		.amdhsa_exception_int_div_zero 0
	.end_amdhsa_kernel
	.section	.text._ZN2at6native12_GLOBAL__N_122pdist_kernel_cuda_implIfNS1_5distsIfE4zeroEEEvPT_PKS6_llS6_dd,"axG",@progbits,_ZN2at6native12_GLOBAL__N_122pdist_kernel_cuda_implIfNS1_5distsIfE4zeroEEEvPT_PKS6_llS6_dd,comdat
.Lfunc_end16:
	.size	_ZN2at6native12_GLOBAL__N_122pdist_kernel_cuda_implIfNS1_5distsIfE4zeroEEEvPT_PKS6_llS6_dd, .Lfunc_end16-_ZN2at6native12_GLOBAL__N_122pdist_kernel_cuda_implIfNS1_5distsIfE4zeroEEEvPT_PKS6_llS6_dd
                                        ; -- End function
	.section	.AMDGPU.csdata,"",@progbits
; Kernel info:
; codeLenInByte = 1196
; NumSgprs: 28
; NumVgprs: 18
; NumAgprs: 0
; TotalNumVgprs: 18
; ScratchSize: 0
; MemoryBound: 0
; FloatMode: 240
; IeeeMode: 1
; LDSByteSize: 1024 bytes/workgroup (compile time only)
; SGPRBlocks: 3
; VGPRBlocks: 2
; NumSGPRsForWavesPerEU: 28
; NumVGPRsForWavesPerEU: 18
; AccumOffset: 20
; Occupancy: 8
; WaveLimiterHint : 0
; COMPUTE_PGM_RSRC2:SCRATCH_EN: 0
; COMPUTE_PGM_RSRC2:USER_SGPR: 6
; COMPUTE_PGM_RSRC2:TRAP_HANDLER: 0
; COMPUTE_PGM_RSRC2:TGID_X_EN: 1
; COMPUTE_PGM_RSRC2:TGID_Y_EN: 0
; COMPUTE_PGM_RSRC2:TGID_Z_EN: 0
; COMPUTE_PGM_RSRC2:TIDIG_COMP_CNT: 0
; COMPUTE_PGM_RSRC3_GFX90A:ACCUM_OFFSET: 4
; COMPUTE_PGM_RSRC3_GFX90A:TG_SPLIT: 0
	.section	.text._ZN2at6native12_GLOBAL__N_122pdist_kernel_cuda_implIfNS1_5distsIfE3oneEEEvPT_PKS6_llS6_dd,"axG",@progbits,_ZN2at6native12_GLOBAL__N_122pdist_kernel_cuda_implIfNS1_5distsIfE3oneEEEvPT_PKS6_llS6_dd,comdat
	.globl	_ZN2at6native12_GLOBAL__N_122pdist_kernel_cuda_implIfNS1_5distsIfE3oneEEEvPT_PKS6_llS6_dd ; -- Begin function _ZN2at6native12_GLOBAL__N_122pdist_kernel_cuda_implIfNS1_5distsIfE3oneEEEvPT_PKS6_llS6_dd
	.p2align	8
	.type	_ZN2at6native12_GLOBAL__N_122pdist_kernel_cuda_implIfNS1_5distsIfE3oneEEEvPT_PKS6_llS6_dd,@function
_ZN2at6native12_GLOBAL__N_122pdist_kernel_cuda_implIfNS1_5distsIfE3oneEEEvPT_PKS6_llS6_dd: ; @_ZN2at6native12_GLOBAL__N_122pdist_kernel_cuda_implIfNS1_5distsIfE3oneEEEvPT_PKS6_llS6_dd
; %bb.0:
	s_load_dword s0, s[4:5], 0x44
	s_load_dwordx8 s[8:15], s[4:5], 0x0
	v_mov_b32_e32 v1, 0
	s_mov_b32 s7, 0
	s_waitcnt lgkmcnt(0)
	s_and_b32 s16, s0, 0xffff
	v_cmp_gt_i64_e32 vcc, s[14:15], v[0:1]
	s_and_saveexec_b64 s[0:1], vcc
	s_cbranch_execz .LBB17_4
; %bb.1:
	s_load_dwordx4 s[20:23], s[4:5], 0x28
	s_lshl_b64 s[2:3], s[6:7], 1
	v_cvt_f64_u32_e32 v[2:3], s3
	v_ldexp_f64 v[2:3], v[2:3], 32
	v_cvt_f64_u32_e32 v[4:5], s2
	v_add_f64 v[2:3], v[2:3], v[4:5]
	s_mov_b32 s2, 0
	s_waitcnt lgkmcnt(0)
	v_add_f64 v[2:3], s[22:23], -v[2:3]
	s_brev_b32 s3, 8
	v_cmp_gt_f64_e32 vcc, s[2:3], v[2:3]
	v_cndmask_b32_e64 v1, 0, 1, vcc
	v_lshlrev_b32_e32 v1, 8, v1
	v_ldexp_f64 v[2:3], v[2:3], v1
	v_rsq_f64_e32 v[4:5], v[2:3]
	s_and_b64 s[2:3], vcc, exec
	s_cselect_b32 s2, 0xffffff80, 0
	v_mov_b32_e32 v1, 0x260
	v_mul_f64 v[6:7], v[2:3], v[4:5]
	v_mul_f64 v[4:5], v[4:5], 0.5
	v_fma_f64 v[8:9], -v[4:5], v[6:7], 0.5
	v_fmac_f64_e32 v[6:7], v[6:7], v[8:9]
	v_fma_f64 v[10:11], -v[6:7], v[6:7], v[2:3]
	v_fmac_f64_e32 v[4:5], v[4:5], v[8:9]
	v_fmac_f64_e32 v[6:7], v[10:11], v[4:5]
	v_fma_f64 v[8:9], -v[6:7], v[6:7], v[2:3]
	v_fmac_f64_e32 v[6:7], v[8:9], v[4:5]
	v_ldexp_f64 v[4:5], v[6:7], s2
	v_cmp_class_f64_e32 vcc, v[2:3], v1
	v_cndmask_b32_e32 v3, v5, v3, vcc
	v_cndmask_b32_e32 v2, v4, v2, vcc
	v_add_f64 v[2:3], s[20:21], -v[2:3]
	v_trunc_f64_e32 v[2:3], v[2:3]
	s_movk_i32 s2, 0xffe0
	v_ldexp_f64 v[4:5], v[2:3], s2
	v_floor_f64_e32 v[4:5], v[4:5]
	v_fmac_f64_e32 v[2:3], 0xc1f00000, v[4:5]
	v_cvt_u32_f64_e32 v1, v[2:3]
	v_cvt_i32_f64_e32 v2, v[4:5]
	v_mul_lo_u32 v3, v1, s15
	v_mul_hi_u32 v4, v1, s14
	v_readfirstlane_b32 s5, v2
	v_add_u32_e32 v3, v4, v3
	v_mul_lo_u32 v2, v2, s14
	v_add_u32_e32 v3, v3, v2
	v_mul_lo_u32 v2, v1, s14
	v_lshlrev_b64 v[2:3], 2, v[2:3]
	v_readfirstlane_b32 s4, v1
	v_mov_b32_e32 v1, s11
	v_add_co_u32_e32 v6, vcc, s10, v2
	v_addc_co_u32_e32 v1, vcc, v1, v3, vcc
	s_lshl_b64 s[2:3], s[14:15], 2
	v_add_co_u32_e32 v4, vcc, s2, v6
	s_add_u32 s2, s4, 1
	v_mov_b32_e32 v5, s3
	s_addc_u32 s3, s5, 0
	s_add_u32 s17, s2, s6
	s_mul_i32 s13, s4, s13
	s_mul_hi_u32 s19, s4, s12
	s_addc_u32 s18, s3, 0
	s_add_i32 s13, s19, s13
	s_mul_i32 s19, s5, s12
	s_add_i32 s13, s13, s19
	s_mul_i32 s12, s4, s12
	s_sub_u32 s12, s17, s12
	s_mul_hi_u32 s17, s2, s4
	s_mul_i32 s5, s2, s5
	s_subb_u32 s13, s18, s13
	s_mul_i32 s3, s3, s4
	s_add_i32 s5, s17, s5
	s_add_i32 s5, s5, s3
	s_mul_i32 s2, s2, s4
	s_lshr_b32 s3, s5, 31
	s_add_u32 s2, s2, s3
	s_addc_u32 s3, s5, 0
	s_ashr_i64 s[2:3], s[2:3], 1
	s_add_u32 s2, s12, s2
	s_addc_u32 s3, s13, s3
	v_addc_co_u32_e32 v5, vcc, v1, v5, vcc
	v_lshlrev_b32_e32 v8, 2, v0
	s_mul_i32 s3, s14, s3
	s_mul_hi_u32 s4, s14, s2
	v_add_co_u32_e32 v6, vcc, v6, v8
	s_add_i32 s3, s4, s3
	s_mul_i32 s4, s15, s2
	v_addc_co_u32_e32 v7, vcc, 0, v1, vcc
	s_add_i32 s3, s3, s4
	s_mul_i32 s2, s14, s2
	s_lshl_b64 s[2:3], s[2:3], 2
	v_mov_b32_e32 v1, s11
	v_add_co_u32_e32 v8, vcc, s10, v8
	v_addc_co_u32_e32 v9, vcc, 0, v1, vcc
	s_lshl_b32 s10, s16, 2
	s_mov_b64 s[4:5], 0
	v_mov_b32_e32 v1, 0
	v_mov_b32_e32 v10, s3
	s_lshl_b32 s3, s16, 2
	v_mov_b32_e32 v11, s7
	s_mov_b32 s11, s7
.LBB17_2:                               ; =>This Inner Loop Header: Depth=1
	v_add_co_u32_e32 v12, vcc, s2, v8
	v_addc_co_u32_e32 v13, vcc, v9, v10, vcc
	v_add_co_u32_e32 v14, vcc, v8, v2
	v_addc_co_u32_e32 v15, vcc, v9, v3, vcc
	global_load_dword v16, v[14:15], off
	global_load_dword v17, v[12:13], off
	v_add_co_u32_e32 v6, vcc, s3, v6
	v_addc_co_u32_e32 v7, vcc, 0, v7, vcc
	v_add_co_u32_e32 v8, vcc, s10, v8
	v_addc_co_u32_e32 v9, vcc, v9, v11, vcc
	v_cmp_ge_u64_e32 vcc, v[6:7], v[4:5]
	s_or_b64 s[4:5], vcc, s[4:5]
	s_waitcnt vmcnt(0)
	v_sub_f32_e32 v12, v16, v17
	v_add_f32_e64 v1, v1, |v12|
	s_andn2_b64 exec, exec, s[4:5]
	s_cbranch_execnz .LBB17_2
; %bb.3:
	s_or_b64 exec, exec, s[4:5]
.LBB17_4:
	s_or_b64 exec, exec, s[0:1]
	v_mbcnt_lo_u32_b32 v2, -1, 0
	v_mbcnt_hi_u32_b32 v6, -1, v2
	v_and_b32_e32 v9, 63, v6
	v_cmp_gt_u32_e32 vcc, 32, v9
	v_cndmask_b32_e64 v2, 0, 1, vcc
	v_lshlrev_b32_e32 v2, 5, v2
	v_add_lshl_u32 v2, v2, v6, 2
	ds_bpermute_b32 v3, v2, v1
	v_cmp_gt_u32_e32 vcc, 48, v9
	v_cndmask_b32_e64 v4, 0, 1, vcc
	v_lshlrev_b32_e32 v4, 4, v4
	v_cmp_gt_u32_e32 vcc, 56, v9
	s_waitcnt lgkmcnt(0)
	v_add_f32_e32 v3, v1, v3
	v_add_lshl_u32 v1, v4, v6, 2
	ds_bpermute_b32 v4, v1, v3
	v_cndmask_b32_e64 v5, 0, 1, vcc
	v_lshlrev_b32_e32 v5, 3, v5
	v_cmp_gt_u32_e32 vcc, 60, v9
	v_cndmask_b32_e64 v7, 0, 1, vcc
	s_waitcnt lgkmcnt(0)
	v_add_f32_e32 v4, v3, v4
	v_add_lshl_u32 v3, v5, v6, 2
	ds_bpermute_b32 v5, v3, v4
	v_lshlrev_b32_e32 v7, 2, v7
	v_cmp_gt_u32_e32 vcc, 62, v9
	v_cndmask_b32_e64 v8, 0, 1, vcc
	v_lshlrev_b32_e32 v8, 1, v8
	s_waitcnt lgkmcnt(0)
	v_add_f32_e32 v5, v4, v5
	v_add_lshl_u32 v4, v7, v6, 2
	ds_bpermute_b32 v7, v4, v5
	v_cmp_ne_u32_e32 vcc, 63, v9
	s_waitcnt lgkmcnt(0)
	s_barrier
	v_add_f32_e32 v7, v5, v7
	v_add_lshl_u32 v5, v8, v6, 2
	ds_bpermute_b32 v10, v5, v7
	v_addc_co_u32_e32 v6, vcc, 0, v6, vcc
	v_lshlrev_b32_e32 v6, 2, v6
	v_and_b32_e32 v8, 63, v0
	s_waitcnt lgkmcnt(0)
	v_add_f32_e32 v7, v7, v10
	ds_bpermute_b32 v9, v6, v7
	v_cmp_eq_u32_e32 vcc, 0, v8
	s_and_saveexec_b64 s[0:1], vcc
	s_cbranch_execz .LBB17_6
; %bb.5:
	s_waitcnt lgkmcnt(0)
	v_add_f32_e32 v7, v7, v9
	v_lshrrev_b32_e32 v9, 4, v0
	ds_write_b32 v9, v7
.LBB17_6:
	s_or_b64 exec, exec, s[0:1]
	s_lshr_b32 s0, s16, 6
	v_cmp_gt_u32_e32 vcc, s0, v0
	v_mov_b32_e32 v7, 0
	s_waitcnt lgkmcnt(0)
	s_barrier
	s_and_saveexec_b64 s[0:1], vcc
	s_cbranch_execnz .LBB17_10
; %bb.7:
	s_or_b64 exec, exec, s[0:1]
	v_cmp_gt_u32_e32 vcc, 64, v0
	s_and_saveexec_b64 s[0:1], vcc
	s_cbranch_execnz .LBB17_11
.LBB17_8:
	s_or_b64 exec, exec, s[0:1]
	v_cmp_eq_u32_e32 vcc, 0, v0
	s_and_saveexec_b64 s[0:1], vcc
	s_cbranch_execnz .LBB17_12
.LBB17_9:
	s_endpgm
.LBB17_10:
	v_lshlrev_b32_e32 v7, 2, v8
	ds_read_b32 v7, v7
	s_or_b64 exec, exec, s[0:1]
	v_cmp_gt_u32_e32 vcc, 64, v0
	s_and_saveexec_b64 s[0:1], vcc
	s_cbranch_execz .LBB17_8
.LBB17_11:
	s_waitcnt lgkmcnt(0)
	ds_bpermute_b32 v2, v2, v7
	s_waitcnt lgkmcnt(0)
	v_add_f32_e32 v2, v7, v2
	ds_bpermute_b32 v1, v1, v2
	s_waitcnt lgkmcnt(0)
	v_add_f32_e32 v1, v2, v1
	;; [unrolled: 3-line block ×6, first 2 shown]
	s_or_b64 exec, exec, s[0:1]
	v_cmp_eq_u32_e32 vcc, 0, v0
	s_and_saveexec_b64 s[0:1], vcc
	s_cbranch_execz .LBB17_9
.LBB17_12:
	s_lshl_b64 s[0:1], s[6:7], 2
	s_add_u32 s0, s8, s0
	s_addc_u32 s1, s9, s1
	v_mov_b32_e32 v0, 0
	s_waitcnt lgkmcnt(0)
	global_store_dword v0, v7, s[0:1]
	s_endpgm
	.section	.rodata,"a",@progbits
	.p2align	6, 0x0
	.amdhsa_kernel _ZN2at6native12_GLOBAL__N_122pdist_kernel_cuda_implIfNS1_5distsIfE3oneEEEvPT_PKS6_llS6_dd
		.amdhsa_group_segment_fixed_size 1024
		.amdhsa_private_segment_fixed_size 0
		.amdhsa_kernarg_size 312
		.amdhsa_user_sgpr_count 6
		.amdhsa_user_sgpr_private_segment_buffer 1
		.amdhsa_user_sgpr_dispatch_ptr 0
		.amdhsa_user_sgpr_queue_ptr 0
		.amdhsa_user_sgpr_kernarg_segment_ptr 1
		.amdhsa_user_sgpr_dispatch_id 0
		.amdhsa_user_sgpr_flat_scratch_init 0
		.amdhsa_user_sgpr_kernarg_preload_length 0
		.amdhsa_user_sgpr_kernarg_preload_offset 0
		.amdhsa_user_sgpr_private_segment_size 0
		.amdhsa_uses_dynamic_stack 0
		.amdhsa_system_sgpr_private_segment_wavefront_offset 0
		.amdhsa_system_sgpr_workgroup_id_x 1
		.amdhsa_system_sgpr_workgroup_id_y 0
		.amdhsa_system_sgpr_workgroup_id_z 0
		.amdhsa_system_sgpr_workgroup_info 0
		.amdhsa_system_vgpr_workitem_id 0
		.amdhsa_next_free_vgpr 18
		.amdhsa_next_free_sgpr 24
		.amdhsa_accum_offset 20
		.amdhsa_reserve_vcc 1
		.amdhsa_reserve_flat_scratch 0
		.amdhsa_float_round_mode_32 0
		.amdhsa_float_round_mode_16_64 0
		.amdhsa_float_denorm_mode_32 3
		.amdhsa_float_denorm_mode_16_64 3
		.amdhsa_dx10_clamp 1
		.amdhsa_ieee_mode 1
		.amdhsa_fp16_overflow 0
		.amdhsa_tg_split 0
		.amdhsa_exception_fp_ieee_invalid_op 0
		.amdhsa_exception_fp_denorm_src 0
		.amdhsa_exception_fp_ieee_div_zero 0
		.amdhsa_exception_fp_ieee_overflow 0
		.amdhsa_exception_fp_ieee_underflow 0
		.amdhsa_exception_fp_ieee_inexact 0
		.amdhsa_exception_int_div_zero 0
	.end_amdhsa_kernel
	.section	.text._ZN2at6native12_GLOBAL__N_122pdist_kernel_cuda_implIfNS1_5distsIfE3oneEEEvPT_PKS6_llS6_dd,"axG",@progbits,_ZN2at6native12_GLOBAL__N_122pdist_kernel_cuda_implIfNS1_5distsIfE3oneEEEvPT_PKS6_llS6_dd,comdat
.Lfunc_end17:
	.size	_ZN2at6native12_GLOBAL__N_122pdist_kernel_cuda_implIfNS1_5distsIfE3oneEEEvPT_PKS6_llS6_dd, .Lfunc_end17-_ZN2at6native12_GLOBAL__N_122pdist_kernel_cuda_implIfNS1_5distsIfE3oneEEEvPT_PKS6_llS6_dd
                                        ; -- End function
	.section	.AMDGPU.csdata,"",@progbits
; Kernel info:
; codeLenInByte = 1144
; NumSgprs: 28
; NumVgprs: 18
; NumAgprs: 0
; TotalNumVgprs: 18
; ScratchSize: 0
; MemoryBound: 0
; FloatMode: 240
; IeeeMode: 1
; LDSByteSize: 1024 bytes/workgroup (compile time only)
; SGPRBlocks: 3
; VGPRBlocks: 2
; NumSGPRsForWavesPerEU: 28
; NumVGPRsForWavesPerEU: 18
; AccumOffset: 20
; Occupancy: 8
; WaveLimiterHint : 0
; COMPUTE_PGM_RSRC2:SCRATCH_EN: 0
; COMPUTE_PGM_RSRC2:USER_SGPR: 6
; COMPUTE_PGM_RSRC2:TRAP_HANDLER: 0
; COMPUTE_PGM_RSRC2:TGID_X_EN: 1
; COMPUTE_PGM_RSRC2:TGID_Y_EN: 0
; COMPUTE_PGM_RSRC2:TGID_Z_EN: 0
; COMPUTE_PGM_RSRC2:TIDIG_COMP_CNT: 0
; COMPUTE_PGM_RSRC3_GFX90A:ACCUM_OFFSET: 4
; COMPUTE_PGM_RSRC3_GFX90A:TG_SPLIT: 0
	.section	.text._ZN2at6native12_GLOBAL__N_122pdist_kernel_cuda_implIfNS1_5distsIfE3twoEEEvPT_PKS6_llS6_dd,"axG",@progbits,_ZN2at6native12_GLOBAL__N_122pdist_kernel_cuda_implIfNS1_5distsIfE3twoEEEvPT_PKS6_llS6_dd,comdat
	.globl	_ZN2at6native12_GLOBAL__N_122pdist_kernel_cuda_implIfNS1_5distsIfE3twoEEEvPT_PKS6_llS6_dd ; -- Begin function _ZN2at6native12_GLOBAL__N_122pdist_kernel_cuda_implIfNS1_5distsIfE3twoEEEvPT_PKS6_llS6_dd
	.p2align	8
	.type	_ZN2at6native12_GLOBAL__N_122pdist_kernel_cuda_implIfNS1_5distsIfE3twoEEEvPT_PKS6_llS6_dd,@function
_ZN2at6native12_GLOBAL__N_122pdist_kernel_cuda_implIfNS1_5distsIfE3twoEEEvPT_PKS6_llS6_dd: ; @_ZN2at6native12_GLOBAL__N_122pdist_kernel_cuda_implIfNS1_5distsIfE3twoEEEvPT_PKS6_llS6_dd
; %bb.0:
	s_load_dword s0, s[4:5], 0x44
	s_load_dwordx8 s[8:15], s[4:5], 0x0
	v_mov_b32_e32 v1, 0
	s_mov_b32 s7, 0
	s_waitcnt lgkmcnt(0)
	s_and_b32 s16, s0, 0xffff
	v_cmp_gt_i64_e32 vcc, s[14:15], v[0:1]
	s_and_saveexec_b64 s[0:1], vcc
	s_cbranch_execz .LBB18_4
; %bb.1:
	s_load_dwordx4 s[20:23], s[4:5], 0x28
	s_lshl_b64 s[2:3], s[6:7], 1
	v_cvt_f64_u32_e32 v[2:3], s3
	v_ldexp_f64 v[2:3], v[2:3], 32
	v_cvt_f64_u32_e32 v[4:5], s2
	v_add_f64 v[2:3], v[2:3], v[4:5]
	s_mov_b32 s2, 0
	s_waitcnt lgkmcnt(0)
	v_add_f64 v[2:3], s[22:23], -v[2:3]
	s_brev_b32 s3, 8
	v_cmp_gt_f64_e32 vcc, s[2:3], v[2:3]
	v_cndmask_b32_e64 v1, 0, 1, vcc
	v_lshlrev_b32_e32 v1, 8, v1
	v_ldexp_f64 v[2:3], v[2:3], v1
	v_rsq_f64_e32 v[4:5], v[2:3]
	s_and_b64 s[2:3], vcc, exec
	s_cselect_b32 s2, 0xffffff80, 0
	v_mov_b32_e32 v1, 0x260
	v_mul_f64 v[6:7], v[2:3], v[4:5]
	v_mul_f64 v[4:5], v[4:5], 0.5
	v_fma_f64 v[8:9], -v[4:5], v[6:7], 0.5
	v_fmac_f64_e32 v[6:7], v[6:7], v[8:9]
	v_fma_f64 v[10:11], -v[6:7], v[6:7], v[2:3]
	v_fmac_f64_e32 v[4:5], v[4:5], v[8:9]
	v_fmac_f64_e32 v[6:7], v[10:11], v[4:5]
	v_fma_f64 v[8:9], -v[6:7], v[6:7], v[2:3]
	v_fmac_f64_e32 v[6:7], v[8:9], v[4:5]
	v_ldexp_f64 v[4:5], v[6:7], s2
	v_cmp_class_f64_e32 vcc, v[2:3], v1
	v_cndmask_b32_e32 v3, v5, v3, vcc
	v_cndmask_b32_e32 v2, v4, v2, vcc
	v_add_f64 v[2:3], s[20:21], -v[2:3]
	v_trunc_f64_e32 v[2:3], v[2:3]
	s_movk_i32 s2, 0xffe0
	v_ldexp_f64 v[4:5], v[2:3], s2
	v_floor_f64_e32 v[4:5], v[4:5]
	v_fmac_f64_e32 v[2:3], 0xc1f00000, v[4:5]
	v_cvt_u32_f64_e32 v1, v[2:3]
	v_cvt_i32_f64_e32 v2, v[4:5]
	v_mul_lo_u32 v3, v1, s15
	v_mul_hi_u32 v4, v1, s14
	v_readfirstlane_b32 s5, v2
	v_add_u32_e32 v3, v4, v3
	v_mul_lo_u32 v2, v2, s14
	v_add_u32_e32 v3, v3, v2
	v_mul_lo_u32 v2, v1, s14
	v_lshlrev_b64 v[2:3], 2, v[2:3]
	v_readfirstlane_b32 s4, v1
	v_mov_b32_e32 v1, s11
	v_add_co_u32_e32 v6, vcc, s10, v2
	v_addc_co_u32_e32 v1, vcc, v1, v3, vcc
	s_lshl_b64 s[2:3], s[14:15], 2
	v_add_co_u32_e32 v4, vcc, s2, v6
	s_add_u32 s2, s4, 1
	v_mov_b32_e32 v5, s3
	s_addc_u32 s3, s5, 0
	s_add_u32 s17, s2, s6
	s_mul_i32 s13, s4, s13
	s_mul_hi_u32 s19, s4, s12
	s_addc_u32 s18, s3, 0
	s_add_i32 s13, s19, s13
	s_mul_i32 s19, s5, s12
	s_add_i32 s13, s13, s19
	s_mul_i32 s12, s4, s12
	s_sub_u32 s12, s17, s12
	s_mul_hi_u32 s17, s2, s4
	s_mul_i32 s5, s2, s5
	s_subb_u32 s13, s18, s13
	s_mul_i32 s3, s3, s4
	s_add_i32 s5, s17, s5
	s_add_i32 s5, s5, s3
	s_mul_i32 s2, s2, s4
	s_lshr_b32 s3, s5, 31
	s_add_u32 s2, s2, s3
	s_addc_u32 s3, s5, 0
	s_ashr_i64 s[2:3], s[2:3], 1
	s_add_u32 s2, s12, s2
	s_addc_u32 s3, s13, s3
	v_addc_co_u32_e32 v5, vcc, v1, v5, vcc
	v_lshlrev_b32_e32 v8, 2, v0
	s_mul_i32 s3, s14, s3
	s_mul_hi_u32 s4, s14, s2
	v_add_co_u32_e32 v6, vcc, v6, v8
	s_add_i32 s3, s4, s3
	s_mul_i32 s4, s15, s2
	v_addc_co_u32_e32 v7, vcc, 0, v1, vcc
	s_add_i32 s3, s3, s4
	s_mul_i32 s2, s14, s2
	s_lshl_b64 s[2:3], s[2:3], 2
	v_mov_b32_e32 v1, s11
	v_add_co_u32_e32 v8, vcc, s10, v8
	v_addc_co_u32_e32 v9, vcc, 0, v1, vcc
	s_lshl_b32 s10, s16, 2
	s_mov_b64 s[4:5], 0
	v_mov_b32_e32 v1, 0
	v_mov_b32_e32 v10, s3
	s_lshl_b32 s3, s16, 2
	v_mov_b32_e32 v11, s7
	s_mov_b32 s11, s7
.LBB18_2:                               ; =>This Inner Loop Header: Depth=1
	v_add_co_u32_e32 v12, vcc, s2, v8
	v_addc_co_u32_e32 v13, vcc, v9, v10, vcc
	v_add_co_u32_e32 v14, vcc, v8, v2
	v_addc_co_u32_e32 v15, vcc, v9, v3, vcc
	global_load_dword v16, v[14:15], off
	global_load_dword v17, v[12:13], off
	v_add_co_u32_e32 v6, vcc, s3, v6
	v_addc_co_u32_e32 v7, vcc, 0, v7, vcc
	v_add_co_u32_e32 v8, vcc, s10, v8
	v_addc_co_u32_e32 v9, vcc, v9, v11, vcc
	v_cmp_ge_u64_e32 vcc, v[6:7], v[4:5]
	s_or_b64 s[4:5], vcc, s[4:5]
	s_waitcnt vmcnt(0)
	v_sub_f32_e32 v12, v16, v17
	v_fmac_f32_e32 v1, v12, v12
	s_andn2_b64 exec, exec, s[4:5]
	s_cbranch_execnz .LBB18_2
; %bb.3:
	s_or_b64 exec, exec, s[4:5]
.LBB18_4:
	s_or_b64 exec, exec, s[0:1]
	v_mbcnt_lo_u32_b32 v2, -1, 0
	v_mbcnt_hi_u32_b32 v6, -1, v2
	v_and_b32_e32 v9, 63, v6
	v_cmp_gt_u32_e32 vcc, 32, v9
	v_cndmask_b32_e64 v2, 0, 1, vcc
	v_lshlrev_b32_e32 v2, 5, v2
	v_add_lshl_u32 v2, v2, v6, 2
	ds_bpermute_b32 v3, v2, v1
	v_cmp_gt_u32_e32 vcc, 48, v9
	v_cndmask_b32_e64 v4, 0, 1, vcc
	v_lshlrev_b32_e32 v4, 4, v4
	v_cmp_gt_u32_e32 vcc, 56, v9
	s_waitcnt lgkmcnt(0)
	v_add_f32_e32 v3, v1, v3
	v_add_lshl_u32 v1, v4, v6, 2
	ds_bpermute_b32 v4, v1, v3
	v_cndmask_b32_e64 v5, 0, 1, vcc
	v_lshlrev_b32_e32 v5, 3, v5
	v_cmp_gt_u32_e32 vcc, 60, v9
	v_cndmask_b32_e64 v7, 0, 1, vcc
	s_waitcnt lgkmcnt(0)
	v_add_f32_e32 v4, v3, v4
	v_add_lshl_u32 v3, v5, v6, 2
	ds_bpermute_b32 v5, v3, v4
	v_lshlrev_b32_e32 v7, 2, v7
	v_cmp_gt_u32_e32 vcc, 62, v9
	v_cndmask_b32_e64 v8, 0, 1, vcc
	v_lshlrev_b32_e32 v8, 1, v8
	s_waitcnt lgkmcnt(0)
	v_add_f32_e32 v5, v4, v5
	v_add_lshl_u32 v4, v7, v6, 2
	ds_bpermute_b32 v7, v4, v5
	v_cmp_ne_u32_e32 vcc, 63, v9
	s_waitcnt lgkmcnt(0)
	s_barrier
	v_add_f32_e32 v7, v5, v7
	v_add_lshl_u32 v5, v8, v6, 2
	ds_bpermute_b32 v10, v5, v7
	v_addc_co_u32_e32 v6, vcc, 0, v6, vcc
	v_lshlrev_b32_e32 v6, 2, v6
	v_and_b32_e32 v8, 63, v0
	s_waitcnt lgkmcnt(0)
	v_add_f32_e32 v7, v7, v10
	ds_bpermute_b32 v9, v6, v7
	v_cmp_eq_u32_e32 vcc, 0, v8
	s_and_saveexec_b64 s[0:1], vcc
	s_cbranch_execz .LBB18_6
; %bb.5:
	s_waitcnt lgkmcnt(0)
	v_add_f32_e32 v7, v7, v9
	v_lshrrev_b32_e32 v9, 4, v0
	ds_write_b32 v9, v7
.LBB18_6:
	s_or_b64 exec, exec, s[0:1]
	s_lshr_b32 s0, s16, 6
	v_cmp_gt_u32_e32 vcc, s0, v0
	v_mov_b32_e32 v7, 0
	s_waitcnt lgkmcnt(0)
	s_barrier
	s_and_saveexec_b64 s[0:1], vcc
	s_cbranch_execnz .LBB18_10
; %bb.7:
	s_or_b64 exec, exec, s[0:1]
	v_cmp_gt_u32_e32 vcc, 64, v0
	s_and_saveexec_b64 s[0:1], vcc
	s_cbranch_execnz .LBB18_11
.LBB18_8:
	s_or_b64 exec, exec, s[0:1]
	v_cmp_eq_u32_e32 vcc, 0, v0
	s_and_saveexec_b64 s[0:1], vcc
	s_cbranch_execnz .LBB18_12
.LBB18_9:
	s_endpgm
.LBB18_10:
	v_lshlrev_b32_e32 v7, 2, v8
	ds_read_b32 v7, v7
	s_or_b64 exec, exec, s[0:1]
	v_cmp_gt_u32_e32 vcc, 64, v0
	s_and_saveexec_b64 s[0:1], vcc
	s_cbranch_execz .LBB18_8
.LBB18_11:
	s_waitcnt lgkmcnt(0)
	ds_bpermute_b32 v2, v2, v7
	s_waitcnt lgkmcnt(0)
	v_add_f32_e32 v2, v7, v2
	ds_bpermute_b32 v1, v1, v2
	s_waitcnt lgkmcnt(0)
	v_add_f32_e32 v1, v2, v1
	;; [unrolled: 3-line block ×6, first 2 shown]
	s_or_b64 exec, exec, s[0:1]
	v_cmp_eq_u32_e32 vcc, 0, v0
	s_and_saveexec_b64 s[0:1], vcc
	s_cbranch_execz .LBB18_9
.LBB18_12:
	s_mov_b32 s2, 0xf800000
	s_waitcnt lgkmcnt(0)
	v_mul_f32_e32 v0, 0x4f800000, v7
	v_cmp_gt_f32_e32 vcc, s2, v7
	v_cndmask_b32_e32 v0, v7, v0, vcc
	v_sqrt_f32_e32 v1, v0
	s_lshl_b64 s[0:1], s[6:7], 2
	s_add_u32 s2, s8, s0
	s_addc_u32 s3, s9, s1
	v_add_u32_e32 v3, -1, v1
	v_fma_f32 v4, -v3, v1, v0
	v_cmp_ge_f32_e64 s[0:1], 0, v4
	v_add_u32_e32 v4, 1, v1
	v_cndmask_b32_e64 v3, v1, v3, s[0:1]
	v_fma_f32 v1, -v4, v1, v0
	v_cmp_lt_f32_e64 s[0:1], 0, v1
	v_cndmask_b32_e64 v1, v3, v4, s[0:1]
	v_mul_f32_e32 v3, 0x37800000, v1
	v_cndmask_b32_e32 v1, v1, v3, vcc
	v_mov_b32_e32 v3, 0x260
	v_cmp_class_f32_e32 vcc, v0, v3
	v_mov_b32_e32 v2, 0
	v_cndmask_b32_e32 v0, v1, v0, vcc
	global_store_dword v2, v0, s[2:3]
	s_endpgm
	.section	.rodata,"a",@progbits
	.p2align	6, 0x0
	.amdhsa_kernel _ZN2at6native12_GLOBAL__N_122pdist_kernel_cuda_implIfNS1_5distsIfE3twoEEEvPT_PKS6_llS6_dd
		.amdhsa_group_segment_fixed_size 1024
		.amdhsa_private_segment_fixed_size 0
		.amdhsa_kernarg_size 312
		.amdhsa_user_sgpr_count 6
		.amdhsa_user_sgpr_private_segment_buffer 1
		.amdhsa_user_sgpr_dispatch_ptr 0
		.amdhsa_user_sgpr_queue_ptr 0
		.amdhsa_user_sgpr_kernarg_segment_ptr 1
		.amdhsa_user_sgpr_dispatch_id 0
		.amdhsa_user_sgpr_flat_scratch_init 0
		.amdhsa_user_sgpr_kernarg_preload_length 0
		.amdhsa_user_sgpr_kernarg_preload_offset 0
		.amdhsa_user_sgpr_private_segment_size 0
		.amdhsa_uses_dynamic_stack 0
		.amdhsa_system_sgpr_private_segment_wavefront_offset 0
		.amdhsa_system_sgpr_workgroup_id_x 1
		.amdhsa_system_sgpr_workgroup_id_y 0
		.amdhsa_system_sgpr_workgroup_id_z 0
		.amdhsa_system_sgpr_workgroup_info 0
		.amdhsa_system_vgpr_workitem_id 0
		.amdhsa_next_free_vgpr 18
		.amdhsa_next_free_sgpr 24
		.amdhsa_accum_offset 20
		.amdhsa_reserve_vcc 1
		.amdhsa_reserve_flat_scratch 0
		.amdhsa_float_round_mode_32 0
		.amdhsa_float_round_mode_16_64 0
		.amdhsa_float_denorm_mode_32 3
		.amdhsa_float_denorm_mode_16_64 3
		.amdhsa_dx10_clamp 1
		.amdhsa_ieee_mode 1
		.amdhsa_fp16_overflow 0
		.amdhsa_tg_split 0
		.amdhsa_exception_fp_ieee_invalid_op 0
		.amdhsa_exception_fp_denorm_src 0
		.amdhsa_exception_fp_ieee_div_zero 0
		.amdhsa_exception_fp_ieee_overflow 0
		.amdhsa_exception_fp_ieee_underflow 0
		.amdhsa_exception_fp_ieee_inexact 0
		.amdhsa_exception_int_div_zero 0
	.end_amdhsa_kernel
	.section	.text._ZN2at6native12_GLOBAL__N_122pdist_kernel_cuda_implIfNS1_5distsIfE3twoEEEvPT_PKS6_llS6_dd,"axG",@progbits,_ZN2at6native12_GLOBAL__N_122pdist_kernel_cuda_implIfNS1_5distsIfE3twoEEEvPT_PKS6_llS6_dd,comdat
.Lfunc_end18:
	.size	_ZN2at6native12_GLOBAL__N_122pdist_kernel_cuda_implIfNS1_5distsIfE3twoEEEvPT_PKS6_llS6_dd, .Lfunc_end18-_ZN2at6native12_GLOBAL__N_122pdist_kernel_cuda_implIfNS1_5distsIfE3twoEEEvPT_PKS6_llS6_dd
                                        ; -- End function
	.section	.AMDGPU.csdata,"",@progbits
; Kernel info:
; codeLenInByte = 1252
; NumSgprs: 28
; NumVgprs: 18
; NumAgprs: 0
; TotalNumVgprs: 18
; ScratchSize: 0
; MemoryBound: 0
; FloatMode: 240
; IeeeMode: 1
; LDSByteSize: 1024 bytes/workgroup (compile time only)
; SGPRBlocks: 3
; VGPRBlocks: 2
; NumSGPRsForWavesPerEU: 28
; NumVGPRsForWavesPerEU: 18
; AccumOffset: 20
; Occupancy: 8
; WaveLimiterHint : 0
; COMPUTE_PGM_RSRC2:SCRATCH_EN: 0
; COMPUTE_PGM_RSRC2:USER_SGPR: 6
; COMPUTE_PGM_RSRC2:TRAP_HANDLER: 0
; COMPUTE_PGM_RSRC2:TGID_X_EN: 1
; COMPUTE_PGM_RSRC2:TGID_Y_EN: 0
; COMPUTE_PGM_RSRC2:TGID_Z_EN: 0
; COMPUTE_PGM_RSRC2:TIDIG_COMP_CNT: 0
; COMPUTE_PGM_RSRC3_GFX90A:ACCUM_OFFSET: 4
; COMPUTE_PGM_RSRC3_GFX90A:TG_SPLIT: 0
	.section	.text._ZN2at6native12_GLOBAL__N_122pdist_kernel_cuda_implIfNS1_5distsIfE3infEEEvPT_PKS6_llS6_dd,"axG",@progbits,_ZN2at6native12_GLOBAL__N_122pdist_kernel_cuda_implIfNS1_5distsIfE3infEEEvPT_PKS6_llS6_dd,comdat
	.globl	_ZN2at6native12_GLOBAL__N_122pdist_kernel_cuda_implIfNS1_5distsIfE3infEEEvPT_PKS6_llS6_dd ; -- Begin function _ZN2at6native12_GLOBAL__N_122pdist_kernel_cuda_implIfNS1_5distsIfE3infEEEvPT_PKS6_llS6_dd
	.p2align	8
	.type	_ZN2at6native12_GLOBAL__N_122pdist_kernel_cuda_implIfNS1_5distsIfE3infEEEvPT_PKS6_llS6_dd,@function
_ZN2at6native12_GLOBAL__N_122pdist_kernel_cuda_implIfNS1_5distsIfE3infEEEvPT_PKS6_llS6_dd: ; @_ZN2at6native12_GLOBAL__N_122pdist_kernel_cuda_implIfNS1_5distsIfE3infEEEvPT_PKS6_llS6_dd
; %bb.0:
	s_load_dword s0, s[4:5], 0x44
	s_load_dwordx8 s[8:15], s[4:5], 0x0
	v_mov_b32_e32 v1, 0
	s_mov_b32 s7, 0
	s_waitcnt lgkmcnt(0)
	s_and_b32 s16, s0, 0xffff
	v_cmp_gt_i64_e32 vcc, s[14:15], v[0:1]
	s_and_saveexec_b64 s[0:1], vcc
	s_cbranch_execz .LBB19_4
; %bb.1:
	s_load_dwordx4 s[20:23], s[4:5], 0x28
	s_lshl_b64 s[2:3], s[6:7], 1
	v_cvt_f64_u32_e32 v[2:3], s3
	v_ldexp_f64 v[2:3], v[2:3], 32
	v_cvt_f64_u32_e32 v[4:5], s2
	v_add_f64 v[2:3], v[2:3], v[4:5]
	s_mov_b32 s2, 0
	s_waitcnt lgkmcnt(0)
	v_add_f64 v[2:3], s[22:23], -v[2:3]
	s_brev_b32 s3, 8
	v_cmp_gt_f64_e32 vcc, s[2:3], v[2:3]
	v_cndmask_b32_e64 v1, 0, 1, vcc
	v_lshlrev_b32_e32 v1, 8, v1
	v_ldexp_f64 v[2:3], v[2:3], v1
	v_rsq_f64_e32 v[4:5], v[2:3]
	s_and_b64 s[2:3], vcc, exec
	s_cselect_b32 s2, 0xffffff80, 0
	v_mov_b32_e32 v1, 0x260
	v_mul_f64 v[6:7], v[2:3], v[4:5]
	v_mul_f64 v[4:5], v[4:5], 0.5
	v_fma_f64 v[8:9], -v[4:5], v[6:7], 0.5
	v_fmac_f64_e32 v[6:7], v[6:7], v[8:9]
	v_fma_f64 v[10:11], -v[6:7], v[6:7], v[2:3]
	v_fmac_f64_e32 v[4:5], v[4:5], v[8:9]
	v_fmac_f64_e32 v[6:7], v[10:11], v[4:5]
	v_fma_f64 v[8:9], -v[6:7], v[6:7], v[2:3]
	v_fmac_f64_e32 v[6:7], v[8:9], v[4:5]
	v_ldexp_f64 v[4:5], v[6:7], s2
	v_cmp_class_f64_e32 vcc, v[2:3], v1
	v_cndmask_b32_e32 v3, v5, v3, vcc
	v_cndmask_b32_e32 v2, v4, v2, vcc
	v_add_f64 v[2:3], s[20:21], -v[2:3]
	v_trunc_f64_e32 v[2:3], v[2:3]
	s_movk_i32 s2, 0xffe0
	v_ldexp_f64 v[4:5], v[2:3], s2
	v_floor_f64_e32 v[4:5], v[4:5]
	v_fmac_f64_e32 v[2:3], 0xc1f00000, v[4:5]
	v_cvt_u32_f64_e32 v1, v[2:3]
	v_cvt_i32_f64_e32 v2, v[4:5]
	v_mul_lo_u32 v3, v1, s15
	v_mul_hi_u32 v4, v1, s14
	v_readfirstlane_b32 s5, v2
	v_add_u32_e32 v3, v4, v3
	v_mul_lo_u32 v2, v2, s14
	v_add_u32_e32 v3, v3, v2
	v_mul_lo_u32 v2, v1, s14
	v_lshlrev_b64 v[2:3], 2, v[2:3]
	v_readfirstlane_b32 s4, v1
	v_mov_b32_e32 v1, s11
	v_add_co_u32_e32 v6, vcc, s10, v2
	v_addc_co_u32_e32 v1, vcc, v1, v3, vcc
	s_lshl_b64 s[2:3], s[14:15], 2
	v_add_co_u32_e32 v4, vcc, s2, v6
	s_add_u32 s2, s4, 1
	v_mov_b32_e32 v5, s3
	s_addc_u32 s3, s5, 0
	s_add_u32 s17, s2, s6
	s_mul_i32 s13, s4, s13
	s_mul_hi_u32 s19, s4, s12
	s_addc_u32 s18, s3, 0
	s_add_i32 s13, s19, s13
	s_mul_i32 s19, s5, s12
	s_add_i32 s13, s13, s19
	s_mul_i32 s12, s4, s12
	s_sub_u32 s12, s17, s12
	s_mul_hi_u32 s17, s2, s4
	s_mul_i32 s5, s2, s5
	s_subb_u32 s13, s18, s13
	s_mul_i32 s3, s3, s4
	s_add_i32 s5, s17, s5
	s_add_i32 s5, s5, s3
	s_mul_i32 s2, s2, s4
	s_lshr_b32 s3, s5, 31
	s_add_u32 s2, s2, s3
	s_addc_u32 s3, s5, 0
	s_ashr_i64 s[2:3], s[2:3], 1
	s_add_u32 s2, s12, s2
	s_addc_u32 s3, s13, s3
	v_addc_co_u32_e32 v5, vcc, v1, v5, vcc
	v_lshlrev_b32_e32 v8, 2, v0
	s_mul_i32 s3, s14, s3
	s_mul_hi_u32 s4, s14, s2
	v_add_co_u32_e32 v6, vcc, v6, v8
	s_add_i32 s3, s4, s3
	s_mul_i32 s4, s15, s2
	v_addc_co_u32_e32 v7, vcc, 0, v1, vcc
	s_add_i32 s3, s3, s4
	s_mul_i32 s2, s14, s2
	s_lshl_b64 s[2:3], s[2:3], 2
	v_mov_b32_e32 v1, s11
	v_add_co_u32_e32 v8, vcc, s10, v8
	v_addc_co_u32_e32 v9, vcc, 0, v1, vcc
	s_lshl_b32 s10, s16, 2
	s_mov_b64 s[4:5], 0
	v_mov_b32_e32 v1, 0
	v_mov_b32_e32 v10, s3
	s_lshl_b32 s3, s16, 2
	v_mov_b32_e32 v11, s7
	s_mov_b32 s11, s7
.LBB19_2:                               ; =>This Inner Loop Header: Depth=1
	v_add_co_u32_e32 v12, vcc, s2, v8
	v_addc_co_u32_e32 v13, vcc, v9, v10, vcc
	v_add_co_u32_e32 v14, vcc, v8, v2
	v_addc_co_u32_e32 v15, vcc, v9, v3, vcc
	global_load_dword v16, v[14:15], off
	global_load_dword v17, v[12:13], off
	v_add_co_u32_e32 v6, vcc, s3, v6
	v_addc_co_u32_e32 v7, vcc, 0, v7, vcc
	v_add_co_u32_e32 v8, vcc, s10, v8
	v_addc_co_u32_e32 v9, vcc, v9, v11, vcc
	v_cmp_ge_u64_e32 vcc, v[6:7], v[4:5]
	s_or_b64 s[4:5], vcc, s[4:5]
	s_waitcnt vmcnt(0)
	v_sub_f32_e32 v12, v16, v17
	v_cmp_lt_f32_e64 s[12:13], v1, |v12|
	v_cndmask_b32_e64 v1, v1, |v12|, s[12:13]
	s_andn2_b64 exec, exec, s[4:5]
	s_cbranch_execnz .LBB19_2
; %bb.3:
	s_or_b64 exec, exec, s[4:5]
.LBB19_4:
	s_or_b64 exec, exec, s[0:1]
	v_mbcnt_lo_u32_b32 v2, -1, 0
	v_mbcnt_hi_u32_b32 v6, -1, v2
	v_and_b32_e32 v9, 63, v6
	v_cmp_gt_u32_e32 vcc, 32, v9
	v_cndmask_b32_e64 v2, 0, 1, vcc
	v_lshlrev_b32_e32 v2, 5, v2
	v_add_lshl_u32 v2, v2, v6, 2
	ds_bpermute_b32 v3, v2, v1
	v_cmp_gt_u32_e32 vcc, 48, v9
	v_cndmask_b32_e64 v4, 0, 1, vcc
	v_and_b32_e32 v8, 63, v0
	s_waitcnt lgkmcnt(0)
	v_cmp_lt_f32_e32 vcc, v1, v3
	v_cndmask_b32_e32 v3, v1, v3, vcc
	v_lshlrev_b32_e32 v1, 4, v4
	v_add_lshl_u32 v1, v1, v6, 2
	ds_bpermute_b32 v4, v1, v3
	s_barrier
	s_waitcnt lgkmcnt(0)
	v_cmp_lt_f32_e32 vcc, v3, v4
	v_cndmask_b32_e32 v4, v3, v4, vcc
	v_cmp_gt_u32_e32 vcc, 56, v9
	v_cndmask_b32_e64 v3, 0, 1, vcc
	v_lshlrev_b32_e32 v3, 3, v3
	v_add_lshl_u32 v3, v3, v6, 2
	ds_bpermute_b32 v5, v3, v4
	s_waitcnt lgkmcnt(0)
	v_cmp_lt_f32_e32 vcc, v4, v5
	v_cndmask_b32_e32 v5, v4, v5, vcc
	v_cmp_gt_u32_e32 vcc, 60, v9
	v_cndmask_b32_e64 v4, 0, 1, vcc
	v_lshlrev_b32_e32 v4, 2, v4
	v_add_lshl_u32 v4, v4, v6, 2
	ds_bpermute_b32 v7, v4, v5
	s_waitcnt lgkmcnt(0)
	v_cmp_lt_f32_e32 vcc, v5, v7
	v_cndmask_b32_e32 v7, v5, v7, vcc
	v_cmp_gt_u32_e32 vcc, 62, v9
	v_cndmask_b32_e64 v5, 0, 1, vcc
	v_lshlrev_b32_e32 v5, 1, v5
	v_add_lshl_u32 v5, v5, v6, 2
	ds_bpermute_b32 v10, v5, v7
	s_waitcnt lgkmcnt(0)
	v_cmp_lt_f32_e32 vcc, v7, v10
	v_cndmask_b32_e32 v7, v7, v10, vcc
	v_cmp_ne_u32_e32 vcc, 63, v9
	v_addc_co_u32_e32 v6, vcc, 0, v6, vcc
	v_lshlrev_b32_e32 v6, 2, v6
	ds_bpermute_b32 v9, v6, v7
	v_cmp_eq_u32_e32 vcc, 0, v8
	s_and_saveexec_b64 s[0:1], vcc
	s_cbranch_execz .LBB19_6
; %bb.5:
	s_waitcnt lgkmcnt(0)
	v_cmp_lt_f32_e32 vcc, v7, v9
	v_cndmask_b32_e32 v7, v7, v9, vcc
	v_lshrrev_b32_e32 v9, 4, v0
	ds_write_b32 v9, v7
.LBB19_6:
	s_or_b64 exec, exec, s[0:1]
	s_lshr_b32 s0, s16, 6
	v_cmp_gt_u32_e32 vcc, s0, v0
	v_mov_b32_e32 v7, 0
	s_waitcnt lgkmcnt(0)
	s_barrier
	s_and_saveexec_b64 s[0:1], vcc
	s_cbranch_execnz .LBB19_10
; %bb.7:
	s_or_b64 exec, exec, s[0:1]
	v_cmp_gt_u32_e32 vcc, 64, v0
	s_and_saveexec_b64 s[0:1], vcc
	s_cbranch_execnz .LBB19_11
.LBB19_8:
	s_or_b64 exec, exec, s[0:1]
	v_cmp_eq_u32_e32 vcc, 0, v0
	s_and_saveexec_b64 s[0:1], vcc
	s_cbranch_execnz .LBB19_12
.LBB19_9:
	s_endpgm
.LBB19_10:
	v_lshlrev_b32_e32 v7, 2, v8
	ds_read_b32 v7, v7
	s_or_b64 exec, exec, s[0:1]
	v_cmp_gt_u32_e32 vcc, 64, v0
	s_and_saveexec_b64 s[0:1], vcc
	s_cbranch_execz .LBB19_8
.LBB19_11:
	s_waitcnt lgkmcnt(0)
	ds_bpermute_b32 v2, v2, v7
	s_waitcnt lgkmcnt(0)
	v_cmp_lt_f32_e32 vcc, v7, v2
	v_cndmask_b32_e32 v2, v7, v2, vcc
	ds_bpermute_b32 v1, v1, v2
	s_waitcnt lgkmcnt(0)
	v_cmp_lt_f32_e32 vcc, v2, v1
	v_cndmask_b32_e32 v1, v2, v1, vcc
	;; [unrolled: 4-line block ×6, first 2 shown]
	s_or_b64 exec, exec, s[0:1]
	v_cmp_eq_u32_e32 vcc, 0, v0
	s_and_saveexec_b64 s[0:1], vcc
	s_cbranch_execz .LBB19_9
.LBB19_12:
	s_lshl_b64 s[0:1], s[6:7], 2
	s_add_u32 s0, s8, s0
	s_addc_u32 s1, s9, s1
	v_mov_b32_e32 v0, 0
	s_waitcnt lgkmcnt(0)
	global_store_dword v0, v7, s[0:1]
	s_endpgm
	.section	.rodata,"a",@progbits
	.p2align	6, 0x0
	.amdhsa_kernel _ZN2at6native12_GLOBAL__N_122pdist_kernel_cuda_implIfNS1_5distsIfE3infEEEvPT_PKS6_llS6_dd
		.amdhsa_group_segment_fixed_size 1024
		.amdhsa_private_segment_fixed_size 0
		.amdhsa_kernarg_size 312
		.amdhsa_user_sgpr_count 6
		.amdhsa_user_sgpr_private_segment_buffer 1
		.amdhsa_user_sgpr_dispatch_ptr 0
		.amdhsa_user_sgpr_queue_ptr 0
		.amdhsa_user_sgpr_kernarg_segment_ptr 1
		.amdhsa_user_sgpr_dispatch_id 0
		.amdhsa_user_sgpr_flat_scratch_init 0
		.amdhsa_user_sgpr_kernarg_preload_length 0
		.amdhsa_user_sgpr_kernarg_preload_offset 0
		.amdhsa_user_sgpr_private_segment_size 0
		.amdhsa_uses_dynamic_stack 0
		.amdhsa_system_sgpr_private_segment_wavefront_offset 0
		.amdhsa_system_sgpr_workgroup_id_x 1
		.amdhsa_system_sgpr_workgroup_id_y 0
		.amdhsa_system_sgpr_workgroup_id_z 0
		.amdhsa_system_sgpr_workgroup_info 0
		.amdhsa_system_vgpr_workitem_id 0
		.amdhsa_next_free_vgpr 18
		.amdhsa_next_free_sgpr 24
		.amdhsa_accum_offset 20
		.amdhsa_reserve_vcc 1
		.amdhsa_reserve_flat_scratch 0
		.amdhsa_float_round_mode_32 0
		.amdhsa_float_round_mode_16_64 0
		.amdhsa_float_denorm_mode_32 3
		.amdhsa_float_denorm_mode_16_64 3
		.amdhsa_dx10_clamp 1
		.amdhsa_ieee_mode 1
		.amdhsa_fp16_overflow 0
		.amdhsa_tg_split 0
		.amdhsa_exception_fp_ieee_invalid_op 0
		.amdhsa_exception_fp_denorm_src 0
		.amdhsa_exception_fp_ieee_div_zero 0
		.amdhsa_exception_fp_ieee_overflow 0
		.amdhsa_exception_fp_ieee_underflow 0
		.amdhsa_exception_fp_ieee_inexact 0
		.amdhsa_exception_int_div_zero 0
	.end_amdhsa_kernel
	.section	.text._ZN2at6native12_GLOBAL__N_122pdist_kernel_cuda_implIfNS1_5distsIfE3infEEEvPT_PKS6_llS6_dd,"axG",@progbits,_ZN2at6native12_GLOBAL__N_122pdist_kernel_cuda_implIfNS1_5distsIfE3infEEEvPT_PKS6_llS6_dd,comdat
.Lfunc_end19:
	.size	_ZN2at6native12_GLOBAL__N_122pdist_kernel_cuda_implIfNS1_5distsIfE3infEEEvPT_PKS6_llS6_dd, .Lfunc_end19-_ZN2at6native12_GLOBAL__N_122pdist_kernel_cuda_implIfNS1_5distsIfE3infEEEvPT_PKS6_llS6_dd
                                        ; -- End function
	.section	.AMDGPU.csdata,"",@progbits
; Kernel info:
; codeLenInByte = 1200
; NumSgprs: 28
; NumVgprs: 18
; NumAgprs: 0
; TotalNumVgprs: 18
; ScratchSize: 0
; MemoryBound: 0
; FloatMode: 240
; IeeeMode: 1
; LDSByteSize: 1024 bytes/workgroup (compile time only)
; SGPRBlocks: 3
; VGPRBlocks: 2
; NumSGPRsForWavesPerEU: 28
; NumVGPRsForWavesPerEU: 18
; AccumOffset: 20
; Occupancy: 8
; WaveLimiterHint : 0
; COMPUTE_PGM_RSRC2:SCRATCH_EN: 0
; COMPUTE_PGM_RSRC2:USER_SGPR: 6
; COMPUTE_PGM_RSRC2:TRAP_HANDLER: 0
; COMPUTE_PGM_RSRC2:TGID_X_EN: 1
; COMPUTE_PGM_RSRC2:TGID_Y_EN: 0
; COMPUTE_PGM_RSRC2:TGID_Z_EN: 0
; COMPUTE_PGM_RSRC2:TIDIG_COMP_CNT: 0
; COMPUTE_PGM_RSRC3_GFX90A:ACCUM_OFFSET: 4
; COMPUTE_PGM_RSRC3_GFX90A:TG_SPLIT: 0
	.section	.text._ZN2at6native12_GLOBAL__N_131pdist_backward_kernel_cuda_implIdNS1_5distsIdE1pEEEvPT_PKS6_S9_S9_llllS6_dd,"axG",@progbits,_ZN2at6native12_GLOBAL__N_131pdist_backward_kernel_cuda_implIdNS1_5distsIdE1pEEEvPT_PKS6_S9_S9_llllS6_dd,comdat
	.globl	_ZN2at6native12_GLOBAL__N_131pdist_backward_kernel_cuda_implIdNS1_5distsIdE1pEEEvPT_PKS6_S9_S9_llllS6_dd ; -- Begin function _ZN2at6native12_GLOBAL__N_131pdist_backward_kernel_cuda_implIdNS1_5distsIdE1pEEEvPT_PKS6_S9_S9_llllS6_dd
	.p2align	8
	.type	_ZN2at6native12_GLOBAL__N_131pdist_backward_kernel_cuda_implIdNS1_5distsIdE1pEEEvPT_PKS6_S9_S9_llllS6_dd,@function
_ZN2at6native12_GLOBAL__N_131pdist_backward_kernel_cuda_implIdNS1_5distsIdE1pEEEvPT_PKS6_S9_S9_llllS6_dd: ; @_ZN2at6native12_GLOBAL__N_131pdist_backward_kernel_cuda_implIdNS1_5distsIdE1pEEEvPT_PKS6_S9_S9_llllS6_dd
; %bb.0:
	s_load_dwordx16 s[12:27], s[4:5], 0x0
	s_load_dword s0, s[4:5], 0x64
	s_add_u32 s50, s4, 0x58
	s_addc_u32 s51, s5, 0
	v_and_b32_e32 v2, 0x3ff, v0
	v_mov_b32_e32 v3, 0
	s_waitcnt lgkmcnt(0)
	s_and_b32 s1, s0, 0xffff
	v_mov_b32_e32 v1, s6
	v_mad_u64_u32 v[36:37], s[2:3], s1, v1, v[2:3]
	v_cmp_gt_i64_e32 vcc, s[26:27], v[36:37]
	s_and_saveexec_b64 s[2:3], vcc
	s_cbranch_execz .LBB20_6
; %bb.1:
	s_lshr_b32 s52, s0, 16
	s_mul_i32 s7, s7, s52
	v_bfe_u32 v0, v0, 10, 10
	v_add_u32_e32 v40, s7, v0
	v_ashrrev_i32_e32 v41, 31, v40
	v_cmp_gt_i64_e32 vcc, s[24:25], v[40:41]
	s_and_b64 exec, exec, vcc
	s_cbranch_execz .LBB20_6
; %bb.2:
	v_lshlrev_b64 v[0:1], 3, v[36:37]
	v_mov_b32_e32 v2, s19
	v_add_co_u32_e32 v0, vcc, s18, v0
	v_addc_co_u32_e32 v1, vcc, v2, v1, vcc
	global_load_dwordx2 v[44:45], v[0:1], off
	s_load_dwordx4 s[28:31], s[4:5], 0x40
	s_load_dwordx2 s[0:1], s[4:5], 0x50
	v_lshlrev_b64 v[10:11], 1, v[36:37]
	v_cvt_f64_u32_e32 v[14:15], v11
	v_cvt_f64_u32_e32 v[10:11], v10
	v_ldexp_f64 v[14:15], v[14:15], 32
	s_mov_b32 s2, 0
	v_add_f64 v[10:11], v[14:15], v[10:11]
	s_brev_b32 s3, 8
	s_waitcnt lgkmcnt(0)
	v_add_f64 v[10:11], s[0:1], -v[10:11]
	v_cmp_gt_f64_e32 vcc, s[2:3], v[10:11]
	v_cndmask_b32_e64 v14, 0, 1, vcc
	v_lshlrev_b32_e32 v14, 8, v14
	v_ldexp_f64 v[10:11], v[10:11], v14
	v_mul_lo_u32 v16, v37, s20
	v_mul_lo_u32 v17, v36, s21
	v_mad_u64_u32 v[12:13], s[4:5], v36, s20, 0
	v_rsq_f64_e32 v[14:15], v[10:11]
	v_add3_u32 v13, v13, v17, v16
	v_lshlrev_b64 v[12:13], 3, v[12:13]
	v_mov_b32_e32 v24, s15
	v_add_co_u32_e64 v38, s[0:1], s14, v12
	v_addc_co_u32_e64 v39, s[0:1], v24, v13, s[0:1]
	v_mul_f64 v[12:13], v[10:11], v[14:15]
	v_mul_f64 v[14:15], v[14:15], 0.5
	v_fma_f64 v[24:25], -v[14:15], v[12:13], 0.5
	v_fmac_f64_e32 v[12:13], v[12:13], v[24:25]
	v_fmac_f64_e32 v[14:15], v[14:15], v[24:25]
	v_fma_f64 v[24:25], -v[12:13], v[12:13], v[10:11]
	v_fmac_f64_e32 v[12:13], v[24:25], v[14:15]
	v_mov_b32_e32 v1, 0xffffff80
	v_fma_f64 v[24:25], -v[12:13], v[12:13], v[10:11]
	v_mov_b32_e32 v26, 0x260
	v_cndmask_b32_e32 v1, 0, v1, vcc
	v_fmac_f64_e32 v[12:13], v[24:25], v[14:15]
	v_ldexp_f64 v[12:13], v[12:13], v1
	v_cmp_class_f64_e32 vcc, v[10:11], v26
	v_mov_b32_e32 v62, 0x3ff00000
	v_add_f64 v[50:51], s[28:29], -1.0
	v_cndmask_b32_e32 v53, v13, v11, vcc
	v_cndmask_b32_e32 v52, v12, v10, vcc
	s_mov_b32 s10, 0x55555555
	s_mov_b32 s11, 0x3fe55555
	v_mov_b32_e32 v0, 0
	v_mov_b32_e32 v2, 0x968915a9
	;; [unrolled: 1-line block ×3, first 2 shown]
	s_mov_b32 s18, 0x4222de17
	s_mov_b32 s19, 0x3fbdee67
	v_mov_b32_e32 v4, 0x3abe935a
	v_mov_b32_e32 v5, 0x3fbe25e4
	v_pk_mov_b32 v[16:17], v[2:3], v[2:3] op_sel:[0,1]
	v_mov_b32_e32 v6, 0x47e6c9c2
	v_mov_b32_e32 v7, 0x3fc110ef
	v_pk_mov_b32 v[18:19], v[4:5], v[4:5] op_sel:[0,1]
	;; [unrolled: 3-line block ×3, first 2 shown]
	v_pk_mov_b32 v[22:23], v[8:9], v[8:9] op_sel:[0,1]
	s_mov_b32 s14, 0xfefa39ef
	s_mov_b32 s15, 0x3fe62e42
	;; [unrolled: 1-line block ×8, first 2 shown]
	s_movk_i32 s33, 0x204
	s_mov_b32 s38, 0x652b82fe
	s_mov_b32 s39, 0x3ff71547
	;; [unrolled: 1-line block ×10, first 2 shown]
	s_waitcnt vmcnt(0)
	v_cmp_eq_f64_e32 vcc, 1.0, v[44:45]
	v_cndmask_b32_e32 v47, v51, v62, vcc
	v_cndmask_b32_e64 v46, v50, 0, vcc
	v_and_b32_e32 v1, 0x7fffffff, v45
	v_cmp_eq_f64_e64 s[0:1], 0, v[46:47]
	v_cndmask_b32_e64 v43, v1, v62, s[0:1]
	v_cndmask_b32_e64 v42, v44, 0, s[0:1]
	v_frexp_mant_f64_e32 v[10:11], v[42:43]
	v_cmp_gt_f64_e64 s[2:3], s[10:11], v[10:11]
	v_cndmask_b32_e64 v1, v62, 2.0, s[2:3]
	v_frexp_exp_i32_f64_e32 v12, v[42:43]
	v_mul_f64 v[10:11], v[10:11], v[0:1]
	v_subbrev_co_u32_e64 v1, s[2:3], 0, v12, s[2:3]
	v_add_f64 v[12:13], v[10:11], 1.0
	v_rcp_f64_e32 v[14:15], v[12:13]
	v_add_f64 v[26:27], v[12:13], -1.0
	v_add_f64 v[24:25], v[10:11], -1.0
	v_add_f64 v[10:11], v[10:11], -v[26:27]
	v_fma_f64 v[26:27], -v[12:13], v[14:15], 1.0
	v_fmac_f64_e32 v[14:15], v[26:27], v[14:15]
	v_fma_f64 v[26:27], -v[12:13], v[14:15], 1.0
	v_fmac_f64_e32 v[14:15], v[26:27], v[14:15]
	v_mul_f64 v[26:27], v[24:25], v[14:15]
	v_mul_f64 v[28:29], v[12:13], v[26:27]
	v_fma_f64 v[12:13], v[26:27], v[12:13], -v[28:29]
	v_fmac_f64_e32 v[12:13], v[26:27], v[10:11]
	v_add_f64 v[10:11], v[28:29], v[12:13]
	v_add_f64 v[30:31], v[24:25], -v[10:11]
	v_add_f64 v[28:29], v[10:11], -v[28:29]
	;; [unrolled: 1-line block ×5, first 2 shown]
	v_add_f64 v[10:11], v[12:13], v[10:11]
	v_add_f64 v[10:11], v[30:31], v[10:11]
	v_mul_f64 v[10:11], v[14:15], v[10:11]
	v_add_f64 v[24:25], v[26:27], v[10:11]
	v_add_f64 v[12:13], v[24:25], -v[26:27]
	v_mul_f64 v[14:15], v[24:25], v[24:25]
	v_add_f64 v[26:27], v[10:11], -v[12:13]
	v_fma_f64 v[10:11], v[24:25], v[24:25], -v[14:15]
	v_add_f64 v[12:13], v[26:27], v[26:27]
	v_fmac_f64_e32 v[10:11], v[24:25], v[12:13]
	v_add_f64 v[28:29], v[14:15], v[10:11]
	v_fmac_f64_e32 v[16:17], s[18:19], v[28:29]
	v_add_f64 v[12:13], v[28:29], -v[14:15]
	v_fmac_f64_e32 v[18:19], v[28:29], v[16:17]
	v_add_f64 v[30:31], v[10:11], -v[12:13]
	v_fmac_f64_e32 v[20:21], v[28:29], v[18:19]
	v_mov_b32_e32 v10, 0x71bf3c30
	v_mov_b32_e32 v11, 0x3fc745d1
	v_fmac_f64_e32 v[22:23], v[28:29], v[20:21]
	v_pk_mov_b32 v[14:15], v[10:11], v[10:11] op_sel:[0,1]
	v_mov_b32_e32 v12, 0x1c7792ce
	v_mov_b32_e32 v13, 0x3fcc71c7
	v_fmac_f64_e32 v[14:15], v[28:29], v[22:23]
	v_pk_mov_b32 v[16:17], v[12:13], v[12:13] op_sel:[0,1]
	v_fmac_f64_e32 v[16:17], v[28:29], v[14:15]
	v_mov_b32_e32 v14, 0x924920da
	v_mov_b32_e32 v15, 0x3fd24924
	v_pk_mov_b32 v[18:19], v[14:15], v[14:15] op_sel:[0,1]
	v_fmac_f64_e32 v[18:19], v[28:29], v[16:17]
	v_mov_b32_e32 v16, 0x9999999c
	v_mov_b32_e32 v17, 0x3fd99999
	v_pk_mov_b32 v[20:21], v[16:17], v[16:17] op_sel:[0,1]
	v_fmac_f64_e32 v[20:21], v[28:29], v[18:19]
	v_cvt_f64_i32_e32 v[18:19], v1
	v_mul_f64 v[22:23], v[18:19], s[14:15]
	v_fma_f64 v[32:33], v[18:19], s[14:15], -v[22:23]
	v_mul_f64 v[54:55], v[24:25], v[28:29]
	v_fmac_f64_e32 v[32:33], s[20:21], v[18:19]
	v_fma_f64 v[56:57], v[28:29], v[24:25], -v[54:55]
	v_add_f64 v[18:19], v[22:23], v[32:33]
	v_fmac_f64_e32 v[56:57], v[28:29], v[26:27]
	v_add_f64 v[22:23], v[18:19], -v[22:23]
	v_fmac_f64_e32 v[56:57], v[30:31], v[24:25]
	v_add_f64 v[22:23], v[32:33], -v[22:23]
	v_ldexp_f64 v[32:33], v[24:25], 1
	v_add_f64 v[24:25], v[54:55], v[56:57]
	v_ldexp_f64 v[34:35], v[26:27], 1
	v_add_f64 v[26:27], v[24:25], -v[54:55]
	v_mul_f64 v[54:55], v[28:29], v[20:21]
	v_fma_f64 v[28:29], v[28:29], v[20:21], -v[54:55]
	v_fmac_f64_e32 v[28:29], v[30:31], v[20:21]
	v_add_f64 v[20:21], v[54:55], v[28:29]
	v_add_f64 v[30:31], v[20:21], -v[54:55]
	v_add_f64 v[28:29], v[28:29], -v[30:31]
	v_add_f64 v[30:31], v[20:21], s[10:11]
	v_add_f64 v[54:55], v[30:31], s[26:27]
	v_add_f64 v[20:21], v[20:21], -v[54:55]
	v_add_f64 v[28:29], v[28:29], s[34:35]
	v_add_f64 v[20:21], v[28:29], v[20:21]
	;; [unrolled: 1-line block ×3, first 2 shown]
	v_add_f64 v[30:31], v[30:31], -v[28:29]
	v_add_f64 v[20:21], v[20:21], v[30:31]
	v_mul_f64 v[30:31], v[24:25], v[28:29]
	v_fma_f64 v[54:55], v[24:25], v[28:29], -v[30:31]
	v_add_f64 v[26:27], v[56:57], -v[26:27]
	v_fmac_f64_e32 v[54:55], v[24:25], v[20:21]
	v_fmac_f64_e32 v[54:55], v[26:27], v[28:29]
	v_add_f64 v[20:21], v[30:31], v[54:55]
	v_add_f64 v[24:25], v[20:21], -v[30:31]
	v_add_f64 v[26:27], v[32:33], v[20:21]
	v_add_f64 v[24:25], v[54:55], -v[24:25]
	v_add_f64 v[28:29], v[26:27], -v[32:33]
	;; [unrolled: 1-line block ×3, first 2 shown]
	v_add_f64 v[24:25], v[34:35], v[24:25]
	v_add_f64 v[20:21], v[24:25], v[20:21]
	;; [unrolled: 1-line block ×3, first 2 shown]
	v_add_f64 v[26:27], v[24:25], -v[26:27]
	v_add_f64 v[20:21], v[20:21], -v[26:27]
	v_add_f64 v[26:27], v[18:19], v[24:25]
	v_add_f64 v[28:29], v[26:27], -v[18:19]
	v_add_f64 v[30:31], v[26:27], -v[28:29]
	;; [unrolled: 1-line block ×4, first 2 shown]
	v_add_f64 v[18:19], v[24:25], v[18:19]
	v_add_f64 v[24:25], v[22:23], v[20:21]
	v_add_f64 v[28:29], v[24:25], -v[22:23]
	v_add_f64 v[30:31], v[24:25], -v[28:29]
	;; [unrolled: 1-line block ×4, first 2 shown]
	v_add_f64 v[18:19], v[24:25], v[18:19]
	v_add_f64 v[20:21], v[20:21], v[22:23]
	;; [unrolled: 1-line block ×3, first 2 shown]
	v_add_f64 v[24:25], v[22:23], -v[26:27]
	v_add_f64 v[18:19], v[18:19], -v[24:25]
	v_add_f64 v[18:19], v[20:21], v[18:19]
	v_add_f64 v[20:21], v[22:23], v[18:19]
	v_add_f64 v[22:23], v[20:21], -v[22:23]
	v_add_f64 v[18:19], v[18:19], -v[22:23]
	v_mul_f64 v[22:23], v[46:47], v[20:21]
	v_fma_f64 v[20:21], v[46:47], v[20:21], -v[22:23]
	v_fmac_f64_e32 v[20:21], v[46:47], v[18:19]
	v_add_f64 v[18:19], v[22:23], v[20:21]
	v_cmp_class_f64_e64 s[2:3], v[22:23], s33
	v_cndmask_b32_e64 v55, v19, v23, s[2:3]
	v_cndmask_b32_e64 v54, v18, v22, s[2:3]
	v_add_f64 v[24:25], v[18:19], -v[22:23]
	v_mul_f64 v[18:19], v[54:55], s[38:39]
	v_rndne_f64_e32 v[58:59], v[18:19]
	v_add_f64 v[20:21], v[20:21], -v[24:25]
	v_cmp_neq_f64_e64 s[2:3], |v[54:55]|, s[36:37]
	v_fma_f64 v[60:61], s[40:41], v[58:59], v[54:55]
	v_mov_b32_e32 v18, 0xfca7ab0c
	v_mov_b32_e32 v19, 0x3e928af3
	v_cndmask_b32_e64 v57, 0, v21, s[2:3]
	v_cndmask_b32_e64 v56, 0, v20, s[2:3]
	v_fmac_f64_e32 v[60:61], s[42:43], v[58:59]
	v_pk_mov_b32 v[22:23], v[18:19], v[18:19] op_sel:[0,1]
	v_mov_b32_e32 v20, 0x623fde64
	v_mov_b32_e32 v21, 0x3ec71dee
	v_fmac_f64_e32 v[22:23], s[44:45], v[60:61]
	v_pk_mov_b32 v[24:25], v[20:21], v[20:21] op_sel:[0,1]
	v_fmac_f64_e32 v[24:25], v[60:61], v[22:23]
	v_mov_b32_e32 v22, 0x7c89e6b0
	v_mov_b32_e32 v23, 0x3efa0199
	v_pk_mov_b32 v[26:27], v[22:23], v[22:23] op_sel:[0,1]
	v_fmac_f64_e32 v[26:27], v[60:61], v[24:25]
	v_mov_b32_e32 v24, 0x14761f6e
	v_mov_b32_e32 v25, 0x3f2a01a0
	v_pk_mov_b32 v[28:29], v[24:25], v[24:25] op_sel:[0,1]
	v_fmac_f64_e32 v[28:29], v[60:61], v[26:27]
	v_mul_f64 v[26:27], v[46:47], 0.5
	v_trunc_f64_e32 v[30:31], v[26:27]
	v_cmp_neq_f64_e64 s[2:3], v[30:31], v[26:27]
	v_mov_b32_e32 v26, 0x1852b7b0
	v_mov_b32_e32 v27, 0x3f56c16c
	v_pk_mov_b32 v[30:31], v[26:27], v[26:27] op_sel:[0,1]
	v_fmac_f64_e32 v[30:31], v[60:61], v[28:29]
	v_mov_b32_e32 v28, 0x11122322
	v_mov_b32_e32 v29, 0x3f811111
	v_pk_mov_b32 v[32:33], v[28:29], v[28:29] op_sel:[0,1]
	v_fmac_f64_e32 v[32:33], v[60:61], v[30:31]
	;; [unrolled: 4-line block ×5, first 2 shown]
	v_fma_f64 v[64:65], v[60:61], v[66:67], 1.0
	s_mov_b32 s46, 0
	v_fma_f64 v[60:61], v[60:61], v[64:65], 1.0
	v_cvt_i32_f64_e32 v1, v[58:59]
	s_mov_b32 s47, 0x40900000
	s_mov_b32 s48, 0
	v_ldexp_f64 v[58:59], v[60:61], v1
	s_mov_b32 s49, 0xc090cc00
	v_cmp_lt_f64_e64 s[4:5], s[46:47], v[54:55]
	v_mov_b32_e32 v63, 0x7ff00000
	v_cndmask_b32_e64 v1, v58, 0, s[4:5]
	v_cndmask_b32_e64 v48, v59, v63, s[4:5]
	v_cmp_ngt_f64_e64 s[6:7], s[48:49], v[54:55]
	v_and_b32_e32 v59, 0x7fffffff, v59
	v_cndmask_b32_e64 v55, 0, v48, s[6:7]
	v_cndmask_b32_e64 v54, 0, v1, s[6:7]
	v_cmp_eq_f64_e64 s[8:9], s[36:37], v[58:59]
	v_pk_mov_b32 v[60:61], v[54:55], v[54:55] op_sel:[0,1]
	s_or_b64 s[4:5], s[4:5], s[8:9]
	v_fmac_f64_e32 v[60:61], v[60:61], v[56:57]
	s_and_b64 s[4:5], s[6:7], s[4:5]
	v_add_f64 v[52:53], s[30:31], -v[52:53]
	v_cndmask_b32_e64 v1, v60, v54, s[4:5]
	v_cndmask_b32_e64 v48, v61, v55, s[4:5]
	v_trunc_f64_e32 v[52:53], v[52:53]
	s_movk_i32 s4, 0xffe0
	v_ldexp_f64 v[54:55], v[52:53], s4
	v_floor_f64_e32 v[54:55], v[54:55]
	v_fmac_f64_e32 v[52:53], 0xc1f00000, v[54:55]
	v_cvt_u32_f64_e32 v52, v[52:53]
	v_cvt_i32_f64_e32 v53, v[54:55]
	v_mul_lo_u32 v56, v52, s25
	v_mul_lo_u32 v57, v53, s24
	v_mad_u64_u32 v[54:55], s[4:5], v52, s24, 0
	v_add3_u32 v55, v55, v56, v57
	v_lshlrev_b64 v[54:55], 3, v[54:55]
	v_mov_b32_e32 v56, s17
	v_add_co_u32_e64 v64, s[4:5], s16, v54
	v_addc_co_u32_e64 v65, s[4:5], v56, v55, s[4:5]
	v_trunc_f64_e32 v[54:55], v[46:47]
	v_cmp_eq_f64_e64 s[4:5], v[54:55], v[46:47]
	v_cndmask_b32_e64 v49, v45, v62, s[0:1]
	s_and_b64 s[2:3], s[4:5], s[2:3]
	s_brev_b32 s6, -2
	v_cndmask_b32_e64 v55, v62, v49, s[2:3]
	v_bfi_b32 v55, s6, v48, v55
	v_cndmask_b32_e64 v48, v44, 0, s[0:1]
	v_mov_b32_e32 v66, 0x7ff80000
	v_and_b32_e32 v51, 0x7fffffff, v51
	v_cndmask_b32_e64 v54, 0, v1, s[4:5]
	v_cndmask_b32_e64 v56, v66, v55, s[4:5]
	v_cmp_gt_f64_e64 s[0:1], 0, v[48:49]
	v_cndmask_b32_e64 v50, v50, 0, vcc
	v_cndmask_b32_e32 v51, v51, v62, vcc
	v_cndmask_b32_e64 v55, v55, v56, s[0:1]
	v_cndmask_b32_e64 v1, v1, v54, s[0:1]
	v_cmp_neq_f64_e32 vcc, v[46:47], v[50:51]
	v_cmp_gt_f64_e64 s[0:1], 1.0, v[42:43]
	s_xor_b64 s[0:1], vcc, s[0:1]
	v_cndmask_b32_e64 v54, v50, 0, s[0:1]
	v_cndmask_b32_e64 v56, v51, 0, s[0:1]
	v_cmp_eq_f64_e32 vcc, 1.0, v[42:43]
	v_cndmask_b32_e32 v56, v56, v43, vcc
	v_cndmask_b32_e32 v54, v54, v42, vcc
	v_cmp_eq_f64_e32 vcc, s[36:37], v[50:51]
	v_cndmask_b32_e32 v1, v1, v54, vcc
	v_cndmask_b32_e32 v50, v55, v56, vcc
	v_cmp_gt_f64_e32 vcc, 0, v[46:47]
	v_cndmask_b32_e64 v51, v63, 0, vcc
	v_cndmask_b32_e64 v54, 0, v49, s[2:3]
	v_bfi_b32 v51, s6, v51, v54
	v_add_co_u32_e32 v54, vcc, 1, v52
	v_addc_co_u32_e32 v55, vcc, 0, v53, vcc
	v_cmp_eq_f64_e32 vcc, s[36:37], v[42:43]
	v_cndmask_b32_e32 v56, v50, v51, vcc
	v_mul_lo_u32 v50, v55, v52
	v_mul_hi_u32 v42, v54, v52
	v_mul_lo_u32 v51, v54, v53
	v_add3_u32 v42, v42, v51, v50
	v_lshrrev_b32_e32 v42, 31, v42
	v_mov_b32_e32 v43, v0
	v_mad_u64_u32 v[42:43], s[0:1], v54, v52, v[42:43]
	v_add3_u32 v43, v50, v43, v51
	v_mul_lo_u32 v57, v52, s23
	v_mad_u64_u32 v[50:51], s[0:1], v52, s22, 0
	v_mul_lo_u32 v58, v53, s22
	v_cndmask_b32_e64 v1, v1, 0, vcc
	v_add3_u32 v51, v51, v57, v58
	v_sub_co_u32_e32 v50, vcc, v36, v50
	v_subb_co_u32_e32 v51, vcc, v37, v51, vcc
	global_load_dwordx2 v[36:37], v[38:39], off
	s_lshl_b64 s[0:1], s[24:25], 3
	v_mov_b32_e32 v57, s1
	v_add_co_u32_e32 v38, vcc, s0, v64
	v_addc_co_u32_e32 v39, vcc, v65, v57, vcc
	v_ashrrev_i64 v[42:43], 1, v[42:43]
	v_add_co_u32_e32 v57, vcc, v42, v50
	v_addc_co_u32_e32 v58, vcc, v43, v51, vcc
	v_add_co_u32_e32 v42, vcc, v54, v57
	v_addc_co_u32_e32 v43, vcc, v55, v58, vcc
	v_mov_b32_e32 v50, s23
	v_sub_co_u32_e32 v51, vcc, s22, v52
	v_subb_co_u32_e32 v50, vcc, v50, v53, vcc
	v_add_co_u32_e32 v51, vcc, -2, v51
	v_addc_co_u32_e32 v50, vcc, -1, v50, vcc
	v_mul_lo_u32 v54, v51, s23
	v_mul_lo_u32 v55, v50, s22
	v_mad_u64_u32 v[50:51], s[0:1], v51, s22, v[42:43]
	v_add3_u32 v51, v55, v51, v54
	v_mad_u64_u32 v[52:53], s[0:1], v57, s22, v[52:53]
	v_mul_lo_u32 v54, v57, s23
	v_mul_lo_u32 v55, v58, s22
	v_add3_u32 v53, v55, v53, v54
	v_mul_lo_u32 v54, v53, s24
	v_mul_lo_u32 v55, v52, s25
	v_mad_u64_u32 v[52:53], s[0:1], v52, s24, 0
	v_add3_u32 v53, v53, v55, v54
	v_lshlrev_b64 v[52:53], 3, v[52:53]
	v_mov_b32_e32 v54, s13
	v_add_co_u32_e32 v67, vcc, s12, v52
	v_addc_co_u32_e32 v68, vcc, v54, v53, vcc
	v_mul_lo_u32 v52, v43, s24
	v_mul_lo_u32 v53, v42, s25
	v_mad_u64_u32 v[42:43], s[0:1], v42, s24, 0
	v_add3_u32 v43, v43, v53, v52
	v_lshlrev_b64 v[42:43], 3, v[42:43]
	s_load_dword s2, s[50:51], 0x4
	v_mov_b32_e32 v52, s17
	v_add_co_u32_e32 v69, vcc, s16, v42
	v_lshlrev_b64 v[40:41], 3, v[40:41]
	v_addc_co_u32_e32 v70, vcc, v52, v43, vcc
	v_cmp_neq_f64_e64 s[0:1], 0, v[44:45]
	v_mul_lo_u32 v52, s25, v50
	v_mul_lo_u32 v51, s24, v51
	v_mad_u64_u32 v[44:45], s[4:5], s24, v50, 0
	v_add_co_u32_e32 v42, vcc, v64, v40
	v_add3_u32 v45, v45, v51, v52
	v_addc_co_u32_e32 v43, vcc, v65, v41, vcc
	v_lshlrev_b64 v[44:45], 3, v[44:45]
	v_mov_b32_e32 v50, s13
	v_add_co_u32_e32 v71, vcc, s12, v44
	s_waitcnt lgkmcnt(0)
	s_mul_i32 s2, s2, s52
	v_addc_co_u32_e32 v72, vcc, v50, v45, vcc
	v_cmp_o_f64_e32 vcc, v[48:49], v[46:47]
	s_ashr_i32 s3, s2, 31
	s_mov_b64 s[8:9], 0
	v_add_f64 v[44:45], s[28:29], -2.0
	v_cndmask_b32_e32 v46, 0, v1, vcc
	v_cndmask_b32_e32 v47, v66, v56, vcc
	s_lshl_b64 s[12:13], s[2:3], 3
	s_branch .LBB20_4
.LBB20_3:                               ;   in Loop: Header=BB20_4 Depth=1
	s_or_b64 exec, exec, s[16:17]
	v_add_co_u32_e32 v50, vcc, v71, v40
	v_addc_co_u32_e32 v51, vcc, v72, v41, vcc
	v_add_co_u32_e32 v52, vcc, v67, v40
	v_addc_co_u32_e32 v53, vcc, v68, v41, vcc
	v_mov_b32_e32 v1, s13
	v_add_co_u32_e32 v42, vcc, s12, v42
	v_addc_co_u32_e32 v43, vcc, v43, v1, vcc
	v_cmp_ge_u64_e32 vcc, v[42:43], v[38:39]
	s_or_b64 s[8:9], vcc, s[8:9]
	v_add_co_u32_e32 v40, vcc, s12, v40
	global_store_dwordx2 v[52:53], v[48:49], off
	v_xor_b32_e32 v49, 0x80000000, v49
	v_addc_co_u32_e32 v41, vcc, v41, v1, vcc
	global_store_dwordx2 v[50:51], v[48:49], off
	s_andn2_b64 exec, exec, s[8:9]
	s_cbranch_execz .LBB20_6
.LBB20_4:                               ; =>This Inner Loop Header: Depth=1
	v_pk_mov_b32 v[48:49], 0, 0
	s_and_saveexec_b64 s[16:17], s[0:1]
	s_cbranch_execz .LBB20_3
; %bb.5:                                ;   in Loop: Header=BB20_4 Depth=1
	v_add_co_u32_e32 v48, vcc, v69, v40
	v_addc_co_u32_e32 v49, vcc, v70, v41, vcc
	v_add_co_u32_e32 v50, vcc, v64, v40
	v_addc_co_u32_e32 v51, vcc, v65, v41, vcc
	global_load_dwordx2 v[50:51], v[50:51], off
	s_nop 0
	global_load_dwordx2 v[48:49], v[48:49], off
	s_mov_b32 s26, s10
	s_mov_b32 s40, s14
	;; [unrolled: 1-line block ×3, first 2 shown]
	s_waitcnt vmcnt(0)
	v_add_f64 v[48:49], v[50:51], -v[48:49]
	v_cmp_eq_f64_e64 vcc, |v[48:49]|, 1.0
	v_cndmask_b32_e32 v51, v45, v62, vcc
	v_cndmask_b32_e64 v50, v44, 0, vcc
	v_and_b32_e32 v1, 0x7fffffff, v49
	v_cmp_neq_f64_e64 s[2:3], 0, v[50:51]
	v_cndmask_b32_e64 v53, v62, v1, s[2:3]
	v_cndmask_b32_e64 v52, 0, v48, s[2:3]
	v_frexp_mant_f64_e32 v[54:55], v[52:53]
	v_cmp_gt_f64_e64 s[2:3], s[10:11], v[54:55]
	v_cndmask_b32_e64 v1, v62, 2.0, s[2:3]
	v_mul_f64 v[54:55], v[54:55], v[0:1]
	v_add_f64 v[56:57], v[54:55], 1.0
	v_rcp_f64_e32 v[58:59], v[56:57]
	v_add_f64 v[74:75], v[56:57], -1.0
	v_add_f64 v[60:61], v[54:55], -1.0
	v_add_f64 v[54:55], v[54:55], -v[74:75]
	v_fma_f64 v[74:75], -v[56:57], v[58:59], 1.0
	v_fmac_f64_e32 v[58:59], v[74:75], v[58:59]
	v_fma_f64 v[74:75], -v[56:57], v[58:59], 1.0
	v_fmac_f64_e32 v[58:59], v[74:75], v[58:59]
	v_mul_f64 v[74:75], v[60:61], v[58:59]
	v_mul_f64 v[76:77], v[56:57], v[74:75]
	v_fma_f64 v[56:57], v[74:75], v[56:57], -v[76:77]
	v_fmac_f64_e32 v[56:57], v[74:75], v[54:55]
	v_add_f64 v[54:55], v[76:77], v[56:57]
	v_add_f64 v[76:77], v[54:55], -v[76:77]
	v_add_f64 v[56:57], v[76:77], -v[56:57]
	;; [unrolled: 1-line block ×5, first 2 shown]
	v_add_f64 v[54:55], v[56:57], v[54:55]
	v_add_f64 v[54:55], v[76:77], v[54:55]
	v_mul_f64 v[54:55], v[58:59], v[54:55]
	v_add_f64 v[56:57], v[74:75], v[54:55]
	v_add_f64 v[58:59], v[56:57], -v[74:75]
	v_mul_f64 v[74:75], v[56:57], v[56:57]
	v_add_f64 v[54:55], v[54:55], -v[58:59]
	v_fma_f64 v[58:59], v[56:57], v[56:57], -v[74:75]
	v_add_f64 v[76:77], v[54:55], v[54:55]
	v_fmac_f64_e32 v[58:59], v[56:57], v[76:77]
	v_add_f64 v[76:77], v[74:75], v[58:59]
	v_pk_mov_b32 v[60:61], v[2:3], v[2:3] op_sel:[0,1]
	v_add_f64 v[74:75], v[76:77], -v[74:75]
	v_add_f64 v[58:59], v[58:59], -v[74:75]
	v_pk_mov_b32 v[74:75], v[4:5], v[4:5] op_sel:[0,1]
	v_fmac_f64_e32 v[60:61], s[18:19], v[76:77]
	v_fmac_f64_e32 v[74:75], v[76:77], v[60:61]
	v_pk_mov_b32 v[60:61], v[6:7], v[6:7] op_sel:[0,1]
	v_fmac_f64_e32 v[60:61], v[76:77], v[74:75]
	v_pk_mov_b32 v[74:75], v[8:9], v[8:9] op_sel:[0,1]
	;; [unrolled: 2-line block ×6, first 2 shown]
	v_fmac_f64_e32 v[74:75], v[76:77], v[60:61]
	v_mul_f64 v[60:61], v[56:57], v[76:77]
	v_fma_f64 v[78:79], v[76:77], v[56:57], -v[60:61]
	v_mul_f64 v[80:81], v[76:77], v[74:75]
	v_fmac_f64_e32 v[78:79], v[76:77], v[54:55]
	v_fma_f64 v[76:77], v[76:77], v[74:75], -v[80:81]
	v_fmac_f64_e32 v[76:77], v[58:59], v[74:75]
	v_fmac_f64_e32 v[78:79], v[58:59], v[56:57]
	v_add_f64 v[58:59], v[80:81], v[76:77]
	v_add_f64 v[74:75], v[58:59], -v[80:81]
	v_add_f64 v[74:75], v[76:77], -v[74:75]
	v_add_f64 v[76:77], v[58:59], s[10:11]
	v_add_f64 v[80:81], v[76:77], s[26:27]
	v_add_f64 v[58:59], v[58:59], -v[80:81]
	v_add_f64 v[74:75], v[74:75], s[34:35]
	v_add_f64 v[58:59], v[74:75], v[58:59]
	;; [unrolled: 1-line block ×3, first 2 shown]
	v_add_f64 v[76:77], v[76:77], -v[74:75]
	v_add_f64 v[58:59], v[58:59], v[76:77]
	v_add_f64 v[76:77], v[60:61], v[78:79]
	v_mul_f64 v[80:81], v[76:77], v[74:75]
	v_fma_f64 v[82:83], v[76:77], v[74:75], -v[80:81]
	v_fmac_f64_e32 v[82:83], v[76:77], v[58:59]
	v_add_f64 v[58:59], v[76:77], -v[60:61]
	v_frexp_exp_i32_f64_e32 v1, v[52:53]
	v_add_f64 v[58:59], v[78:79], -v[58:59]
	v_subbrev_co_u32_e64 v1, s[2:3], 0, v1, s[2:3]
	v_fmac_f64_e32 v[82:83], v[58:59], v[74:75]
	v_cvt_f64_i32_e32 v[58:59], v1
	v_mul_f64 v[60:61], v[58:59], s[14:15]
	v_fma_f64 v[74:75], v[58:59], s[14:15], -v[60:61]
	v_fmac_f64_e32 v[74:75], s[20:21], v[58:59]
	v_add_f64 v[58:59], v[60:61], v[74:75]
	v_add_f64 v[60:61], v[58:59], -v[60:61]
	v_add_f64 v[60:61], v[74:75], -v[60:61]
	v_add_f64 v[74:75], v[80:81], v[82:83]
	v_ldexp_f64 v[56:57], v[56:57], 1
	v_add_f64 v[76:77], v[74:75], -v[80:81]
	v_add_f64 v[78:79], v[56:57], v[74:75]
	v_add_f64 v[76:77], v[82:83], -v[76:77]
	v_add_f64 v[56:57], v[78:79], -v[56:57]
	v_ldexp_f64 v[54:55], v[54:55], 1
	v_add_f64 v[56:57], v[74:75], -v[56:57]
	v_add_f64 v[54:55], v[54:55], v[76:77]
	v_add_f64 v[54:55], v[54:55], v[56:57]
	;; [unrolled: 1-line block ×3, first 2 shown]
	v_add_f64 v[74:75], v[56:57], -v[78:79]
	v_add_f64 v[76:77], v[58:59], v[56:57]
	v_add_f64 v[54:55], v[54:55], -v[74:75]
	v_add_f64 v[74:75], v[76:77], -v[58:59]
	v_add_f64 v[56:57], v[56:57], -v[74:75]
	v_add_f64 v[74:75], v[76:77], -v[74:75]
	v_add_f64 v[58:59], v[58:59], -v[74:75]
	v_add_f64 v[74:75], v[60:61], v[54:55]
	v_add_f64 v[56:57], v[56:57], v[58:59]
	v_add_f64 v[58:59], v[74:75], -v[60:61]
	v_add_f64 v[54:55], v[54:55], -v[58:59]
	;; [unrolled: 1-line block ×4, first 2 shown]
	v_add_f64 v[56:57], v[74:75], v[56:57]
	v_add_f64 v[54:55], v[54:55], v[58:59]
	;; [unrolled: 1-line block ×3, first 2 shown]
	v_add_f64 v[60:61], v[58:59], -v[76:77]
	v_add_f64 v[56:57], v[56:57], -v[60:61]
	v_add_f64 v[54:55], v[54:55], v[56:57]
	v_add_f64 v[56:57], v[58:59], v[54:55]
	v_add_f64 v[58:59], v[56:57], -v[58:59]
	v_mul_f64 v[60:61], v[50:51], v[56:57]
	v_add_f64 v[54:55], v[54:55], -v[58:59]
	v_fma_f64 v[58:59], v[50:51], v[56:57], -v[60:61]
	v_fmac_f64_e32 v[58:59], v[50:51], v[54:55]
	v_cmp_class_f64_e64 s[2:3], v[60:61], s33
	v_add_f64 v[54:55], v[60:61], v[58:59]
	v_cndmask_b32_e64 v57, v55, v61, s[2:3]
	v_cndmask_b32_e64 v56, v54, v60, s[2:3]
	v_add_f64 v[54:55], v[54:55], -v[60:61]
	v_add_f64 v[54:55], v[58:59], -v[54:55]
	v_mul_f64 v[58:59], v[56:57], s[38:39]
	v_rndne_f64_e32 v[58:59], v[58:59]
	v_fma_f64 v[60:61], s[40:41], v[58:59], v[56:57]
	v_pk_mov_b32 v[78:79], v[18:19], v[18:19] op_sel:[0,1]
	v_fmac_f64_e32 v[60:61], s[42:43], v[58:59]
	v_pk_mov_b32 v[74:75], v[20:21], v[20:21] op_sel:[0,1]
	v_fmac_f64_e32 v[78:79], s[44:45], v[60:61]
	v_fmac_f64_e32 v[74:75], v[60:61], v[78:79]
	v_pk_mov_b32 v[76:77], v[22:23], v[22:23] op_sel:[0,1]
	v_fmac_f64_e32 v[76:77], v[60:61], v[74:75]
	v_pk_mov_b32 v[74:75], v[24:25], v[24:25] op_sel:[0,1]
	;; [unrolled: 2-line block ×7, first 2 shown]
	v_fmac_f64_e32 v[76:77], v[60:61], v[74:75]
	v_fma_f64 v[74:75], v[60:61], v[76:77], 1.0
	v_cmp_neq_f64_e64 s[2:3], |v[56:57]|, s[36:37]
	v_fma_f64 v[60:61], v[60:61], v[74:75], 1.0
	v_cvt_i32_f64_e32 v1, v[58:59]
	v_cndmask_b32_e64 v55, 0, v55, s[2:3]
	v_cndmask_b32_e64 v54, 0, v54, s[2:3]
	v_ldexp_f64 v[58:59], v[60:61], v1
	v_cmp_lt_f64_e64 s[2:3], s[46:47], v[56:57]
	v_cndmask_b32_e64 v1, v58, 0, s[2:3]
	v_cndmask_b32_e64 v60, v59, v63, s[2:3]
	v_cmp_ngt_f64_e64 s[4:5], s[48:49], v[56:57]
	v_cndmask_b32_e64 v57, 0, v60, s[4:5]
	v_cndmask_b32_e64 v56, 0, v1, s[4:5]
	v_and_b32_e32 v59, 0x7fffffff, v59
	v_pk_mov_b32 v[60:61], v[56:57], v[56:57] op_sel:[0,1]
	v_cmp_eq_f64_e64 s[6:7], s[36:37], v[58:59]
	v_fmac_f64_e32 v[60:61], v[60:61], v[54:55]
	s_or_b64 s[2:3], s[2:3], s[6:7]
	v_and_b32_e32 v54, 0x7fffffff, v45
	s_and_b64 s[2:3], s[4:5], s[2:3]
	v_cndmask_b32_e32 v55, v54, v62, vcc
	v_cndmask_b32_e64 v54, v44, 0, vcc
	v_cndmask_b32_e64 v1, v61, v57, s[2:3]
	v_cndmask_b32_e64 v56, v60, v56, s[2:3]
	v_cmp_neq_f64_e32 vcc, v[50:51], v[54:55]
	v_cmp_gt_f64_e64 s[2:3], 1.0, v[52:53]
	s_xor_b64 s[2:3], vcc, s[2:3]
	v_cndmask_b32_e64 v57, v55, 0, s[2:3]
	v_cndmask_b32_e64 v58, v54, 0, s[2:3]
	v_cmp_eq_f64_e32 vcc, 1.0, v[52:53]
	v_and_b32_e32 v1, 0x7fffffff, v1
	v_cndmask_b32_e32 v58, v58, v52, vcc
	v_cndmask_b32_e32 v57, v57, v53, vcc
	v_cmp_eq_f64_e32 vcc, s[36:37], v[54:55]
	v_cmp_eq_f64_e64 s[2:3], 0, v[52:53]
	v_cmp_gt_f64_e64 s[4:5], 0, v[50:51]
	v_cndmask_b32_e32 v1, v1, v57, vcc
	v_cndmask_b32_e32 v54, v56, v58, vcc
	v_cmp_eq_f64_e32 vcc, s[36:37], v[52:53]
	s_xor_b64 s[4:5], s[4:5], s[2:3]
	v_cndmask_b32_e64 v55, v63, 0, s[4:5]
	s_or_b64 vcc, vcc, s[2:3]
	v_cndmask_b32_e64 v54, v54, 0, vcc
	v_cndmask_b32_e32 v1, v1, v55, vcc
	v_cmp_o_f64_e32 vcc, v[52:53], v[50:51]
	v_cndmask_b32_e32 v51, v66, v1, vcc
	v_cndmask_b32_e32 v50, 0, v54, vcc
	v_mul_f64 v[48:49], v[48:49], v[50:51]
	v_mul_f64 v[48:49], v[36:37], v[48:49]
	v_div_scale_f64 v[50:51], s[2:3], v[46:47], v[46:47], v[48:49]
	v_rcp_f64_e32 v[52:53], v[50:51]
	v_fma_f64 v[54:55], -v[50:51], v[52:53], 1.0
	v_fmac_f64_e32 v[52:53], v[52:53], v[54:55]
	v_fma_f64 v[54:55], -v[50:51], v[52:53], 1.0
	v_fmac_f64_e32 v[52:53], v[52:53], v[54:55]
	v_div_scale_f64 v[54:55], vcc, v[48:49], v[46:47], v[48:49]
	v_mul_f64 v[56:57], v[54:55], v[52:53]
	v_fma_f64 v[50:51], -v[50:51], v[56:57], v[54:55]
	s_nop 1
	v_div_fmas_f64 v[50:51], v[50:51], v[52:53], v[56:57]
	v_div_fixup_f64 v[48:49], v[50:51], v[46:47], v[48:49]
	s_branch .LBB20_3
.LBB20_6:
	s_endpgm
	.section	.rodata,"a",@progbits
	.p2align	6, 0x0
	.amdhsa_kernel _ZN2at6native12_GLOBAL__N_131pdist_backward_kernel_cuda_implIdNS1_5distsIdE1pEEEvPT_PKS6_S9_S9_llllS6_dd
		.amdhsa_group_segment_fixed_size 0
		.amdhsa_private_segment_fixed_size 0
		.amdhsa_kernarg_size 344
		.amdhsa_user_sgpr_count 6
		.amdhsa_user_sgpr_private_segment_buffer 1
		.amdhsa_user_sgpr_dispatch_ptr 0
		.amdhsa_user_sgpr_queue_ptr 0
		.amdhsa_user_sgpr_kernarg_segment_ptr 1
		.amdhsa_user_sgpr_dispatch_id 0
		.amdhsa_user_sgpr_flat_scratch_init 0
		.amdhsa_user_sgpr_kernarg_preload_length 0
		.amdhsa_user_sgpr_kernarg_preload_offset 0
		.amdhsa_user_sgpr_private_segment_size 0
		.amdhsa_uses_dynamic_stack 0
		.amdhsa_system_sgpr_private_segment_wavefront_offset 0
		.amdhsa_system_sgpr_workgroup_id_x 1
		.amdhsa_system_sgpr_workgroup_id_y 1
		.amdhsa_system_sgpr_workgroup_id_z 0
		.amdhsa_system_sgpr_workgroup_info 0
		.amdhsa_system_vgpr_workitem_id 1
		.amdhsa_next_free_vgpr 84
		.amdhsa_next_free_sgpr 53
		.amdhsa_accum_offset 84
		.amdhsa_reserve_vcc 1
		.amdhsa_reserve_flat_scratch 0
		.amdhsa_float_round_mode_32 0
		.amdhsa_float_round_mode_16_64 0
		.amdhsa_float_denorm_mode_32 3
		.amdhsa_float_denorm_mode_16_64 3
		.amdhsa_dx10_clamp 1
		.amdhsa_ieee_mode 1
		.amdhsa_fp16_overflow 0
		.amdhsa_tg_split 0
		.amdhsa_exception_fp_ieee_invalid_op 0
		.amdhsa_exception_fp_denorm_src 0
		.amdhsa_exception_fp_ieee_div_zero 0
		.amdhsa_exception_fp_ieee_overflow 0
		.amdhsa_exception_fp_ieee_underflow 0
		.amdhsa_exception_fp_ieee_inexact 0
		.amdhsa_exception_int_div_zero 0
	.end_amdhsa_kernel
	.section	.text._ZN2at6native12_GLOBAL__N_131pdist_backward_kernel_cuda_implIdNS1_5distsIdE1pEEEvPT_PKS6_S9_S9_llllS6_dd,"axG",@progbits,_ZN2at6native12_GLOBAL__N_131pdist_backward_kernel_cuda_implIdNS1_5distsIdE1pEEEvPT_PKS6_S9_S9_llllS6_dd,comdat
.Lfunc_end20:
	.size	_ZN2at6native12_GLOBAL__N_131pdist_backward_kernel_cuda_implIdNS1_5distsIdE1pEEEvPT_PKS6_S9_S9_llllS6_dd, .Lfunc_end20-_ZN2at6native12_GLOBAL__N_131pdist_backward_kernel_cuda_implIdNS1_5distsIdE1pEEEvPT_PKS6_S9_S9_llllS6_dd
                                        ; -- End function
	.section	.AMDGPU.csdata,"",@progbits
; Kernel info:
; codeLenInByte = 4628
; NumSgprs: 57
; NumVgprs: 84
; NumAgprs: 0
; TotalNumVgprs: 84
; ScratchSize: 0
; MemoryBound: 0
; FloatMode: 240
; IeeeMode: 1
; LDSByteSize: 0 bytes/workgroup (compile time only)
; SGPRBlocks: 7
; VGPRBlocks: 10
; NumSGPRsForWavesPerEU: 57
; NumVGPRsForWavesPerEU: 84
; AccumOffset: 84
; Occupancy: 5
; WaveLimiterHint : 0
; COMPUTE_PGM_RSRC2:SCRATCH_EN: 0
; COMPUTE_PGM_RSRC2:USER_SGPR: 6
; COMPUTE_PGM_RSRC2:TRAP_HANDLER: 0
; COMPUTE_PGM_RSRC2:TGID_X_EN: 1
; COMPUTE_PGM_RSRC2:TGID_Y_EN: 1
; COMPUTE_PGM_RSRC2:TGID_Z_EN: 0
; COMPUTE_PGM_RSRC2:TIDIG_COMP_CNT: 1
; COMPUTE_PGM_RSRC3_GFX90A:ACCUM_OFFSET: 20
; COMPUTE_PGM_RSRC3_GFX90A:TG_SPLIT: 0
	.section	.text._ZN2at6native12_GLOBAL__N_131pdist_backward_kernel_cuda_implIdNS1_5distsIdE3oneEEEvPT_PKS6_S9_S9_llllS6_dd,"axG",@progbits,_ZN2at6native12_GLOBAL__N_131pdist_backward_kernel_cuda_implIdNS1_5distsIdE3oneEEEvPT_PKS6_S9_S9_llllS6_dd,comdat
	.globl	_ZN2at6native12_GLOBAL__N_131pdist_backward_kernel_cuda_implIdNS1_5distsIdE3oneEEEvPT_PKS6_S9_S9_llllS6_dd ; -- Begin function _ZN2at6native12_GLOBAL__N_131pdist_backward_kernel_cuda_implIdNS1_5distsIdE3oneEEEvPT_PKS6_S9_S9_llllS6_dd
	.p2align	8
	.type	_ZN2at6native12_GLOBAL__N_131pdist_backward_kernel_cuda_implIdNS1_5distsIdE3oneEEEvPT_PKS6_S9_S9_llllS6_dd,@function
_ZN2at6native12_GLOBAL__N_131pdist_backward_kernel_cuda_implIdNS1_5distsIdE3oneEEEvPT_PKS6_S9_S9_llllS6_dd: ; @_ZN2at6native12_GLOBAL__N_131pdist_backward_kernel_cuda_implIdNS1_5distsIdE3oneEEEvPT_PKS6_S9_S9_llllS6_dd
; %bb.0:
	s_load_dwordx8 s[8:15], s[4:5], 0x20
	s_load_dword s0, s[4:5], 0x64
	s_add_u32 s20, s4, 0x58
	s_addc_u32 s21, s5, 0
	v_and_b32_e32 v2, 0x3ff, v0
	v_mov_b32_e32 v3, 0
	s_waitcnt lgkmcnt(0)
	s_and_b32 s1, s0, 0xffff
	v_mov_b32_e32 v1, s6
	v_mad_u64_u32 v[8:9], s[2:3], s1, v1, v[2:3]
	v_cmp_gt_i64_e32 vcc, s[14:15], v[8:9]
	s_and_saveexec_b64 s[2:3], vcc
	s_cbranch_execz .LBB21_4
; %bb.1:
	s_lshr_b32 s14, s0, 16
	s_mul_i32 s7, s7, s14
	v_bfe_u32 v0, v0, 10, 10
	v_add_u32_e32 v4, s7, v0
	v_ashrrev_i32_e32 v5, 31, v4
	v_cmp_gt_i64_e32 vcc, s[12:13], v[4:5]
	s_and_b64 exec, exec, vcc
	s_cbranch_execz .LBB21_4
; %bb.2:
	s_load_dwordx4 s[16:19], s[4:5], 0x48
	v_lshlrev_b64 v[0:1], 1, v[8:9]
	v_cvt_f64_u32_e32 v[2:3], v1
	v_ldexp_f64 v[2:3], v[2:3], 32
	v_cvt_f64_u32_e32 v[0:1], v0
	v_add_f64 v[0:1], v[2:3], v[0:1]
	s_mov_b32 s0, 0
	s_waitcnt lgkmcnt(0)
	v_add_f64 v[0:1], s[18:19], -v[0:1]
	s_brev_b32 s1, 8
	v_cmp_gt_f64_e32 vcc, s[0:1], v[0:1]
	v_cndmask_b32_e64 v2, 0, 1, vcc
	v_lshlrev_b32_e32 v2, 8, v2
	v_ldexp_f64 v[0:1], v[0:1], v2
	v_rsq_f64_e32 v[2:3], v[0:1]
	s_load_dwordx4 s[0:3], s[4:5], 0x0
	s_load_dwordx2 s[6:7], s[4:5], 0x10
	s_load_dword s15, s[20:21], 0x4
	s_movk_i32 s4, 0xffe0
	v_lshlrev_b64 v[4:5], 3, v[4:5]
	v_mul_f64 v[6:7], v[0:1], v[2:3]
	v_mul_f64 v[2:3], v[2:3], 0.5
	v_fma_f64 v[10:11], -v[2:3], v[6:7], 0.5
	v_fmac_f64_e32 v[6:7], v[6:7], v[10:11]
	v_fma_f64 v[12:13], -v[6:7], v[6:7], v[0:1]
	v_fmac_f64_e32 v[2:3], v[2:3], v[10:11]
	v_fmac_f64_e32 v[6:7], v[12:13], v[2:3]
	v_fma_f64 v[10:11], -v[6:7], v[6:7], v[0:1]
	v_fmac_f64_e32 v[6:7], v[10:11], v[2:3]
	v_mov_b32_e32 v2, 0xffffff80
	v_cndmask_b32_e32 v2, 0, v2, vcc
	v_ldexp_f64 v[2:3], v[6:7], v2
	v_mov_b32_e32 v6, 0x260
	v_cmp_class_f64_e32 vcc, v[0:1], v6
	v_cndmask_b32_e32 v1, v3, v1, vcc
	v_cndmask_b32_e32 v0, v2, v0, vcc
	v_add_f64 v[0:1], s[16:17], -v[0:1]
	v_trunc_f64_e32 v[0:1], v[0:1]
	v_ldexp_f64 v[2:3], v[0:1], s4
	v_floor_f64_e32 v[2:3], v[2:3]
	v_fmac_f64_e32 v[0:1], 0xc1f00000, v[2:3]
	v_cvt_u32_f64_e32 v14, v[0:1]
	v_cvt_i32_f64_e32 v15, v[2:3]
	v_mul_lo_u32 v2, v9, s8
	v_mul_lo_u32 v3, v8, s9
	v_mad_u64_u32 v[0:1], s[4:5], v8, s8, 0
	v_add3_u32 v1, v1, v3, v2
	v_lshlrev_b64 v[0:1], 3, v[0:1]
	s_waitcnt lgkmcnt(0)
	v_mov_b32_e32 v2, s3
	v_add_co_u32_e32 v0, vcc, s2, v0
	v_addc_co_u32_e32 v1, vcc, v2, v1, vcc
	global_load_dwordx2 v[0:1], v[0:1], off
	v_mul_lo_u32 v6, v14, s13
	v_mad_u64_u32 v[2:3], s[2:3], v14, s12, 0
	v_mul_lo_u32 v7, v15, s12
	v_add3_u32 v3, v3, v6, v7
	v_lshlrev_b64 v[2:3], 3, v[2:3]
	v_mov_b32_e32 v18, s7
	v_add_co_u32_e32 v10, vcc, s6, v2
	v_addc_co_u32_e32 v11, vcc, v18, v3, vcc
	s_lshl_b64 s[2:3], s[12:13], 3
	v_mov_b32_e32 v3, s3
	v_add_co_u32_e32 v2, vcc, s2, v10
	v_addc_co_u32_e32 v3, vcc, v11, v3, vcc
	v_add_co_u32_e32 v6, vcc, v10, v4
	v_addc_co_u32_e32 v7, vcc, v11, v5, vcc
	;; [unrolled: 2-line block ×3, first 2 shown]
	v_mul_lo_u32 v16, v20, v14
	v_mul_hi_u32 v12, v19, v14
	v_mul_lo_u32 v17, v19, v15
	v_add3_u32 v12, v12, v17, v16
	v_mov_b32_e32 v13, 0
	v_lshrrev_b32_e32 v12, 31, v12
	v_mad_u64_u32 v[12:13], s[4:5], v19, v14, v[12:13]
	v_add3_u32 v13, v16, v13, v17
	v_mul_lo_u32 v21, v14, s11
	v_mad_u64_u32 v[16:17], s[4:5], v14, s10, 0
	v_mul_lo_u32 v22, v15, s10
	v_add3_u32 v17, v17, v21, v22
	v_sub_co_u32_e32 v8, vcc, v8, v16
	v_ashrrev_i64 v[12:13], 1, v[12:13]
	v_subb_co_u32_e32 v9, vcc, v9, v17, vcc
	v_add_co_u32_e32 v8, vcc, v12, v8
	v_addc_co_u32_e32 v9, vcc, v13, v9, vcc
	v_add_co_u32_e32 v12, vcc, v19, v8
	v_addc_co_u32_e32 v13, vcc, v20, v9, vcc
	v_mov_b32_e32 v16, s11
	v_sub_co_u32_e32 v17, vcc, s10, v14
	v_subb_co_u32_e32 v16, vcc, v16, v15, vcc
	v_add_co_u32_e32 v19, vcc, -2, v17
	v_addc_co_u32_e32 v20, vcc, -1, v16, vcc
	v_mad_u64_u32 v[16:17], s[4:5], v19, s10, v[12:13]
	v_mul_lo_u32 v19, v19, s11
	v_mul_lo_u32 v20, v20, s10
	v_add3_u32 v17, v20, v17, v19
	v_mul_lo_u32 v19, v8, s11
	v_mul_lo_u32 v20, v9, s10
	v_mad_u64_u32 v[8:9], s[4:5], v8, s10, v[14:15]
	v_add3_u32 v9, v20, v9, v19
	v_mul_lo_u32 v14, v9, s12
	v_mul_lo_u32 v15, v8, s13
	v_mad_u64_u32 v[8:9], s[4:5], v8, s12, 0
	v_add3_u32 v9, v9, v15, v14
	v_lshlrev_b64 v[8:9], 3, v[8:9]
	v_mov_b32_e32 v14, s1
	v_add_co_u32_e32 v8, vcc, s0, v8
	v_addc_co_u32_e32 v9, vcc, v14, v9, vcc
	v_mul_lo_u32 v14, v13, s12
	v_mul_lo_u32 v15, v12, s13
	v_mad_u64_u32 v[12:13], s[4:5], v12, s12, 0
	v_add3_u32 v13, v13, v15, v14
	v_lshlrev_b64 v[12:13], 3, v[12:13]
	v_add_co_u32_e32 v12, vcc, s6, v12
	v_addc_co_u32_e32 v13, vcc, v18, v13, vcc
	v_mul_lo_u32 v18, s13, v16
	v_mul_lo_u32 v17, s12, v17
	v_mad_u64_u32 v[14:15], s[4:5], s12, v16, 0
	v_add3_u32 v15, v15, v17, v18
	s_mul_i32 s2, s15, s14
	v_lshlrev_b64 v[14:15], 3, v[14:15]
	s_ashr_i32 s3, s2, 31
	v_mov_b32_e32 v16, s1
	v_add_co_u32_e32 v14, vcc, s0, v14
	v_addc_co_u32_e32 v15, vcc, v16, v15, vcc
	s_lshl_b64 s[2:3], s[2:3], 3
	s_mov_b64 s[4:5], 0
.LBB21_3:                               ; =>This Inner Loop Header: Depth=1
	v_add_co_u32_e32 v16, vcc, v12, v4
	v_addc_co_u32_e32 v17, vcc, v13, v5, vcc
	v_add_co_u32_e32 v18, vcc, v10, v4
	v_addc_co_u32_e32 v19, vcc, v11, v5, vcc
	global_load_dwordx2 v[20:21], v[18:19], off
	global_load_dwordx2 v[22:23], v[16:17], off
	v_add_co_u32_e32 v16, vcc, v14, v4
	v_addc_co_u32_e32 v17, vcc, v15, v5, vcc
	v_add_co_u32_e32 v18, vcc, v8, v4
	v_addc_co_u32_e32 v19, vcc, v9, v5, vcc
	v_mov_b32_e32 v24, s3
	v_add_co_u32_e32 v4, vcc, s2, v4
	v_add_co_u32_e64 v6, s[0:1], s2, v6
	v_addc_co_u32_e64 v7, s[0:1], v7, v24, s[0:1]
	v_addc_co_u32_e32 v5, vcc, v5, v24, vcc
	v_cmp_ge_u64_e32 vcc, v[6:7], v[2:3]
	s_or_b64 s[4:5], vcc, s[4:5]
	s_waitcnt vmcnt(0)
	v_add_f64 v[20:21], v[20:21], -v[22:23]
	v_cmp_lt_f64_e32 vcc, 0, v[20:21]
	v_cndmask_b32_e64 v22, 0, 1, vcc
	v_cmp_gt_f64_e32 vcc, 0, v[20:21]
	v_subbrev_co_u32_e32 v20, vcc, 0, v22, vcc
	v_cvt_f64_i32_e32 v[20:21], v20
	v_mul_f64 v[20:21], v[0:1], v[20:21]
	global_store_dwordx2 v[18:19], v[20:21], off
	v_xor_b32_e32 v21, 0x80000000, v21
	global_store_dwordx2 v[16:17], v[20:21], off
	s_andn2_b64 exec, exec, s[4:5]
	s_cbranch_execnz .LBB21_3
.LBB21_4:
	s_endpgm
	.section	.rodata,"a",@progbits
	.p2align	6, 0x0
	.amdhsa_kernel _ZN2at6native12_GLOBAL__N_131pdist_backward_kernel_cuda_implIdNS1_5distsIdE3oneEEEvPT_PKS6_S9_S9_llllS6_dd
		.amdhsa_group_segment_fixed_size 0
		.amdhsa_private_segment_fixed_size 0
		.amdhsa_kernarg_size 344
		.amdhsa_user_sgpr_count 6
		.amdhsa_user_sgpr_private_segment_buffer 1
		.amdhsa_user_sgpr_dispatch_ptr 0
		.amdhsa_user_sgpr_queue_ptr 0
		.amdhsa_user_sgpr_kernarg_segment_ptr 1
		.amdhsa_user_sgpr_dispatch_id 0
		.amdhsa_user_sgpr_flat_scratch_init 0
		.amdhsa_user_sgpr_kernarg_preload_length 0
		.amdhsa_user_sgpr_kernarg_preload_offset 0
		.amdhsa_user_sgpr_private_segment_size 0
		.amdhsa_uses_dynamic_stack 0
		.amdhsa_system_sgpr_private_segment_wavefront_offset 0
		.amdhsa_system_sgpr_workgroup_id_x 1
		.amdhsa_system_sgpr_workgroup_id_y 1
		.amdhsa_system_sgpr_workgroup_id_z 0
		.amdhsa_system_sgpr_workgroup_info 0
		.amdhsa_system_vgpr_workitem_id 1
		.amdhsa_next_free_vgpr 25
		.amdhsa_next_free_sgpr 22
		.amdhsa_accum_offset 28
		.amdhsa_reserve_vcc 1
		.amdhsa_reserve_flat_scratch 0
		.amdhsa_float_round_mode_32 0
		.amdhsa_float_round_mode_16_64 0
		.amdhsa_float_denorm_mode_32 3
		.amdhsa_float_denorm_mode_16_64 3
		.amdhsa_dx10_clamp 1
		.amdhsa_ieee_mode 1
		.amdhsa_fp16_overflow 0
		.amdhsa_tg_split 0
		.amdhsa_exception_fp_ieee_invalid_op 0
		.amdhsa_exception_fp_denorm_src 0
		.amdhsa_exception_fp_ieee_div_zero 0
		.amdhsa_exception_fp_ieee_overflow 0
		.amdhsa_exception_fp_ieee_underflow 0
		.amdhsa_exception_fp_ieee_inexact 0
		.amdhsa_exception_int_div_zero 0
	.end_amdhsa_kernel
	.section	.text._ZN2at6native12_GLOBAL__N_131pdist_backward_kernel_cuda_implIdNS1_5distsIdE3oneEEEvPT_PKS6_S9_S9_llllS6_dd,"axG",@progbits,_ZN2at6native12_GLOBAL__N_131pdist_backward_kernel_cuda_implIdNS1_5distsIdE3oneEEEvPT_PKS6_S9_S9_llllS6_dd,comdat
.Lfunc_end21:
	.size	_ZN2at6native12_GLOBAL__N_131pdist_backward_kernel_cuda_implIdNS1_5distsIdE3oneEEEvPT_PKS6_S9_S9_llllS6_dd, .Lfunc_end21-_ZN2at6native12_GLOBAL__N_131pdist_backward_kernel_cuda_implIdNS1_5distsIdE3oneEEEvPT_PKS6_S9_S9_llllS6_dd
                                        ; -- End function
	.section	.AMDGPU.csdata,"",@progbits
; Kernel info:
; codeLenInByte = 1056
; NumSgprs: 26
; NumVgprs: 25
; NumAgprs: 0
; TotalNumVgprs: 25
; ScratchSize: 0
; MemoryBound: 0
; FloatMode: 240
; IeeeMode: 1
; LDSByteSize: 0 bytes/workgroup (compile time only)
; SGPRBlocks: 3
; VGPRBlocks: 3
; NumSGPRsForWavesPerEU: 26
; NumVGPRsForWavesPerEU: 25
; AccumOffset: 28
; Occupancy: 8
; WaveLimiterHint : 1
; COMPUTE_PGM_RSRC2:SCRATCH_EN: 0
; COMPUTE_PGM_RSRC2:USER_SGPR: 6
; COMPUTE_PGM_RSRC2:TRAP_HANDLER: 0
; COMPUTE_PGM_RSRC2:TGID_X_EN: 1
; COMPUTE_PGM_RSRC2:TGID_Y_EN: 1
; COMPUTE_PGM_RSRC2:TGID_Z_EN: 0
; COMPUTE_PGM_RSRC2:TIDIG_COMP_CNT: 1
; COMPUTE_PGM_RSRC3_GFX90A:ACCUM_OFFSET: 6
; COMPUTE_PGM_RSRC3_GFX90A:TG_SPLIT: 0
	.section	.text._ZN2at6native12_GLOBAL__N_131pdist_backward_kernel_cuda_implIdNS1_5distsIdE6lt_twoEEEvPT_PKS6_S9_S9_llllS6_dd,"axG",@progbits,_ZN2at6native12_GLOBAL__N_131pdist_backward_kernel_cuda_implIdNS1_5distsIdE6lt_twoEEEvPT_PKS6_S9_S9_llllS6_dd,comdat
	.globl	_ZN2at6native12_GLOBAL__N_131pdist_backward_kernel_cuda_implIdNS1_5distsIdE6lt_twoEEEvPT_PKS6_S9_S9_llllS6_dd ; -- Begin function _ZN2at6native12_GLOBAL__N_131pdist_backward_kernel_cuda_implIdNS1_5distsIdE6lt_twoEEEvPT_PKS6_S9_S9_llllS6_dd
	.p2align	8
	.type	_ZN2at6native12_GLOBAL__N_131pdist_backward_kernel_cuda_implIdNS1_5distsIdE6lt_twoEEEvPT_PKS6_S9_S9_llllS6_dd,@function
_ZN2at6native12_GLOBAL__N_131pdist_backward_kernel_cuda_implIdNS1_5distsIdE6lt_twoEEEvPT_PKS6_S9_S9_llllS6_dd: ; @_ZN2at6native12_GLOBAL__N_131pdist_backward_kernel_cuda_implIdNS1_5distsIdE6lt_twoEEEvPT_PKS6_S9_S9_llllS6_dd
; %bb.0:
	s_load_dwordx16 s[12:27], s[4:5], 0x0
	s_load_dword s0, s[4:5], 0x64
	s_add_u32 s34, s4, 0x58
	s_addc_u32 s35, s5, 0
	v_and_b32_e32 v2, 0x3ff, v0
	v_mov_b32_e32 v3, 0
	s_waitcnt lgkmcnt(0)
	s_and_b32 s1, s0, 0xffff
	v_mov_b32_e32 v1, s6
	v_mad_u64_u32 v[22:23], s[2:3], s1, v1, v[2:3]
	v_cmp_gt_i64_e32 vcc, s[26:27], v[22:23]
	s_and_saveexec_b64 s[2:3], vcc
	s_cbranch_execz .LBB22_6
; %bb.1:
	s_lshr_b32 s33, s0, 16
	s_mul_i32 s7, s7, s33
	v_bfe_u32 v0, v0, 10, 10
	v_add_u32_e32 v20, s7, v0
	v_ashrrev_i32_e32 v21, 31, v20
	v_cmp_gt_i64_e32 vcc, s[24:25], v[20:21]
	s_and_b64 exec, exec, vcc
	s_cbranch_execz .LBB22_6
; %bb.2:
	v_lshlrev_b64 v[0:1], 3, v[22:23]
	v_mov_b32_e32 v2, s19
	v_add_co_u32_e32 v0, vcc, s18, v0
	v_addc_co_u32_e32 v1, vcc, v2, v1, vcc
	global_load_dwordx2 v[32:33], v[0:1], off
	s_load_dwordx4 s[28:31], s[4:5], 0x40
	s_load_dwordx2 s[0:1], s[4:5], 0x50
	v_lshlrev_b64 v[10:11], 1, v[22:23]
	v_cvt_f64_u32_e32 v[14:15], v11
	v_cvt_f64_u32_e32 v[10:11], v10
	v_ldexp_f64 v[14:15], v[14:15], 32
	s_mov_b32 s2, 0
	v_add_f64 v[10:11], v[14:15], v[10:11]
	s_brev_b32 s3, 8
	s_waitcnt lgkmcnt(0)
	v_add_f64 v[10:11], s[0:1], -v[10:11]
	v_cmp_gt_f64_e32 vcc, s[2:3], v[10:11]
	v_cndmask_b32_e64 v14, 0, 1, vcc
	v_lshlrev_b32_e32 v14, 8, v14
	v_ldexp_f64 v[14:15], v[10:11], v14
	v_mul_lo_u32 v16, v23, s20
	v_mul_lo_u32 v17, v22, s21
	v_mad_u64_u32 v[12:13], s[4:5], v22, s20, 0
	v_rsq_f64_e32 v[28:29], v[14:15]
	v_add3_u32 v13, v13, v17, v16
	v_lshlrev_b64 v[12:13], 3, v[12:13]
	v_mov_b32_e32 v30, s15
	v_add_co_u32_e64 v48, s[0:1], s14, v12
	v_addc_co_u32_e64 v49, s[0:1], v30, v13, s[0:1]
	v_mul_f64 v[12:13], v[14:15], v[28:29]
	v_mul_f64 v[28:29], v[28:29], 0.5
	v_fma_f64 v[30:31], -v[28:29], v[12:13], 0.5
	v_fmac_f64_e32 v[12:13], v[12:13], v[30:31]
	v_fmac_f64_e32 v[28:29], v[28:29], v[30:31]
	v_fma_f64 v[30:31], -v[12:13], v[12:13], v[14:15]
	v_fmac_f64_e32 v[12:13], v[30:31], v[28:29]
	v_mov_b32_e32 v1, 0xffffff80
	v_fma_f64 v[30:31], -v[12:13], v[12:13], v[14:15]
	v_mov_b32_e32 v34, 0x260
	v_cndmask_b32_e32 v1, 0, v1, vcc
	v_fmac_f64_e32 v[12:13], v[30:31], v[28:29]
	v_ldexp_f64 v[12:13], v[12:13], v1
	v_cmp_class_f64_e32 vcc, v[14:15], v34
	v_mov_b32_e32 v58, 0x3ff00000
	v_add_f64 v[10:11], s[28:29], -1.0
	v_cndmask_b32_e32 v53, v13, v15, vcc
	v_cndmask_b32_e32 v52, v12, v14, vcc
	s_mov_b32 s10, 0x55555555
	s_mov_b32 s11, 0x3fe55555
	v_mov_b32_e32 v0, 0
	v_mov_b32_e32 v2, 0x968915a9
	v_mov_b32_e32 v3, 0x3fba6564
	s_mov_b32 s18, 0x4222de17
	s_mov_b32 s19, 0x3fbdee67
	v_mov_b32_e32 v4, 0x3abe935a
	v_mov_b32_e32 v5, 0x3fbe25e4
	v_pk_mov_b32 v[16:17], v[2:3], v[2:3] op_sel:[0,1]
	v_mov_b32_e32 v6, 0x47e6c9c2
	v_mov_b32_e32 v7, 0x3fc110ef
	v_pk_mov_b32 v[18:19], v[4:5], v[4:5] op_sel:[0,1]
	;; [unrolled: 3-line block ×3, first 2 shown]
	v_pk_mov_b32 v[26:27], v[8:9], v[8:9] op_sel:[0,1]
	s_mov_b32 s14, 0xfefa39ef
	s_mov_b32 s15, 0x3fe62e42
	;; [unrolled: 1-line block ×8, first 2 shown]
	s_movk_i32 s52, 0x204
	s_mov_b32 s40, 0x652b82fe
	s_mov_b32 s41, 0x3ff71547
	;; [unrolled: 1-line block ×10, first 2 shown]
	s_waitcnt vmcnt(0)
	v_cmp_eq_f64_e32 vcc, 1.0, v[32:33]
	v_cndmask_b32_e32 v45, v11, v58, vcc
	v_cndmask_b32_e64 v44, v10, 0, vcc
	v_and_b32_e32 v1, 0x7fffffff, v33
	v_cmp_eq_f64_e64 s[0:1], 0, v[44:45]
	v_cndmask_b32_e64 v51, v1, v58, s[0:1]
	v_cndmask_b32_e64 v50, v32, 0, s[0:1]
	v_frexp_mant_f64_e32 v[12:13], v[50:51]
	v_cmp_gt_f64_e64 s[2:3], s[10:11], v[12:13]
	v_cndmask_b32_e64 v1, v58, 2.0, s[2:3]
	v_frexp_exp_i32_f64_e32 v14, v[50:51]
	v_mul_f64 v[12:13], v[12:13], v[0:1]
	v_subbrev_co_u32_e64 v1, s[2:3], 0, v14, s[2:3]
	v_add_f64 v[14:15], v[12:13], 1.0
	v_rcp_f64_e32 v[28:29], v[14:15]
	v_add_f64 v[34:35], v[14:15], -1.0
	v_add_f64 v[30:31], v[12:13], -1.0
	v_add_f64 v[12:13], v[12:13], -v[34:35]
	v_fma_f64 v[34:35], -v[14:15], v[28:29], 1.0
	v_fmac_f64_e32 v[28:29], v[34:35], v[28:29]
	v_fma_f64 v[34:35], -v[14:15], v[28:29], 1.0
	v_fmac_f64_e32 v[28:29], v[34:35], v[28:29]
	v_mul_f64 v[34:35], v[30:31], v[28:29]
	v_mul_f64 v[36:37], v[14:15], v[34:35]
	v_fma_f64 v[14:15], v[34:35], v[14:15], -v[36:37]
	v_fmac_f64_e32 v[14:15], v[34:35], v[12:13]
	v_add_f64 v[12:13], v[36:37], v[14:15]
	v_add_f64 v[38:39], v[30:31], -v[12:13]
	v_add_f64 v[36:37], v[12:13], -v[36:37]
	;; [unrolled: 1-line block ×5, first 2 shown]
	v_add_f64 v[12:13], v[14:15], v[12:13]
	v_add_f64 v[12:13], v[38:39], v[12:13]
	v_mul_f64 v[12:13], v[28:29], v[12:13]
	v_add_f64 v[28:29], v[34:35], v[12:13]
	v_add_f64 v[14:15], v[28:29], -v[34:35]
	v_mul_f64 v[30:31], v[28:29], v[28:29]
	v_add_f64 v[34:35], v[12:13], -v[14:15]
	v_fma_f64 v[12:13], v[28:29], v[28:29], -v[30:31]
	v_add_f64 v[14:15], v[34:35], v[34:35]
	v_fmac_f64_e32 v[12:13], v[28:29], v[14:15]
	v_add_f64 v[36:37], v[30:31], v[12:13]
	v_fmac_f64_e32 v[16:17], s[18:19], v[36:37]
	v_add_f64 v[14:15], v[36:37], -v[30:31]
	v_fmac_f64_e32 v[18:19], v[36:37], v[16:17]
	v_add_f64 v[30:31], v[12:13], -v[14:15]
	v_fmac_f64_e32 v[24:25], v[36:37], v[18:19]
	v_mov_b32_e32 v12, 0x71bf3c30
	v_mov_b32_e32 v13, 0x3fc745d1
	v_fmac_f64_e32 v[26:27], v[36:37], v[24:25]
	v_pk_mov_b32 v[16:17], v[12:13], v[12:13] op_sel:[0,1]
	v_mov_b32_e32 v14, 0x1c7792ce
	v_mov_b32_e32 v15, 0x3fcc71c7
	v_fmac_f64_e32 v[16:17], v[36:37], v[26:27]
	v_pk_mov_b32 v[18:19], v[14:15], v[14:15] op_sel:[0,1]
	v_fmac_f64_e32 v[18:19], v[36:37], v[16:17]
	v_mov_b32_e32 v16, 0x924920da
	v_mov_b32_e32 v17, 0x3fd24924
	v_pk_mov_b32 v[24:25], v[16:17], v[16:17] op_sel:[0,1]
	v_fmac_f64_e32 v[24:25], v[36:37], v[18:19]
	v_mov_b32_e32 v18, 0x9999999c
	v_mov_b32_e32 v19, 0x3fd99999
	v_pk_mov_b32 v[26:27], v[18:19], v[18:19] op_sel:[0,1]
	v_fmac_f64_e32 v[26:27], v[36:37], v[24:25]
	v_cvt_f64_i32_e32 v[24:25], v1
	v_mul_f64 v[38:39], v[24:25], s[14:15]
	v_fma_f64 v[40:41], v[24:25], s[14:15], -v[38:39]
	v_mul_f64 v[54:55], v[28:29], v[36:37]
	v_fmac_f64_e32 v[40:41], s[20:21], v[24:25]
	v_fma_f64 v[56:57], v[36:37], v[28:29], -v[54:55]
	v_add_f64 v[24:25], v[38:39], v[40:41]
	v_fmac_f64_e32 v[56:57], v[36:37], v[34:35]
	v_add_f64 v[38:39], v[24:25], -v[38:39]
	v_fmac_f64_e32 v[56:57], v[30:31], v[28:29]
	v_add_f64 v[38:39], v[40:41], -v[38:39]
	v_ldexp_f64 v[40:41], v[28:29], 1
	v_add_f64 v[28:29], v[54:55], v[56:57]
	v_ldexp_f64 v[42:43], v[34:35], 1
	v_add_f64 v[34:35], v[28:29], -v[54:55]
	v_mul_f64 v[54:55], v[36:37], v[26:27]
	v_fma_f64 v[36:37], v[36:37], v[26:27], -v[54:55]
	v_fmac_f64_e32 v[36:37], v[30:31], v[26:27]
	v_add_f64 v[26:27], v[54:55], v[36:37]
	v_add_f64 v[30:31], v[26:27], -v[54:55]
	v_add_f64 v[30:31], v[36:37], -v[30:31]
	v_add_f64 v[36:37], v[26:27], s[10:11]
	v_add_f64 v[54:55], v[36:37], s[26:27]
	v_add_f64 v[26:27], v[26:27], -v[54:55]
	v_add_f64 v[30:31], v[30:31], s[36:37]
	v_add_f64 v[26:27], v[30:31], v[26:27]
	;; [unrolled: 1-line block ×3, first 2 shown]
	v_add_f64 v[36:37], v[36:37], -v[30:31]
	v_add_f64 v[26:27], v[26:27], v[36:37]
	v_mul_f64 v[36:37], v[28:29], v[30:31]
	v_fma_f64 v[54:55], v[28:29], v[30:31], -v[36:37]
	v_add_f64 v[34:35], v[56:57], -v[34:35]
	v_fmac_f64_e32 v[54:55], v[28:29], v[26:27]
	v_fmac_f64_e32 v[54:55], v[34:35], v[30:31]
	v_add_f64 v[26:27], v[36:37], v[54:55]
	v_add_f64 v[28:29], v[26:27], -v[36:37]
	v_add_f64 v[30:31], v[40:41], v[26:27]
	v_add_f64 v[28:29], v[54:55], -v[28:29]
	v_add_f64 v[34:35], v[30:31], -v[40:41]
	;; [unrolled: 1-line block ×3, first 2 shown]
	v_add_f64 v[28:29], v[42:43], v[28:29]
	v_add_f64 v[26:27], v[28:29], v[26:27]
	;; [unrolled: 1-line block ×3, first 2 shown]
	v_add_f64 v[30:31], v[28:29], -v[30:31]
	v_add_f64 v[26:27], v[26:27], -v[30:31]
	v_add_f64 v[30:31], v[24:25], v[28:29]
	v_add_f64 v[34:35], v[30:31], -v[24:25]
	v_add_f64 v[36:37], v[30:31], -v[34:35]
	;; [unrolled: 1-line block ×4, first 2 shown]
	v_add_f64 v[24:25], v[28:29], v[24:25]
	v_add_f64 v[28:29], v[38:39], v[26:27]
	v_add_f64 v[34:35], v[28:29], -v[38:39]
	v_add_f64 v[24:25], v[28:29], v[24:25]
	v_add_f64 v[36:37], v[28:29], -v[34:35]
	;; [unrolled: 2-line block ×3, first 2 shown]
	v_add_f64 v[26:27], v[26:27], -v[34:35]
	v_add_f64 v[30:31], v[28:29], -v[30:31]
	v_add_f64 v[26:27], v[26:27], v[36:37]
	v_add_f64 v[24:25], v[24:25], -v[30:31]
	v_add_f64 v[24:25], v[26:27], v[24:25]
	v_add_f64 v[26:27], v[28:29], v[24:25]
	v_add_f64 v[28:29], v[26:27], -v[28:29]
	v_add_f64 v[24:25], v[24:25], -v[28:29]
	v_mul_f64 v[28:29], v[44:45], v[26:27]
	v_fma_f64 v[26:27], v[44:45], v[26:27], -v[28:29]
	v_fmac_f64_e32 v[26:27], v[44:45], v[24:25]
	v_add_f64 v[24:25], v[28:29], v[26:27]
	v_cmp_class_f64_e64 s[2:3], v[28:29], s52
	v_cndmask_b32_e64 v55, v25, v29, s[2:3]
	v_cndmask_b32_e64 v54, v24, v28, s[2:3]
	v_add_f64 v[30:31], v[24:25], -v[28:29]
	v_mul_f64 v[24:25], v[54:55], s[40:41]
	v_rndne_f64_e32 v[60:61], v[24:25]
	v_add_f64 v[26:27], v[26:27], -v[30:31]
	v_cmp_neq_f64_e64 s[2:3], |v[54:55]|, s[38:39]
	v_fma_f64 v[62:63], s[42:43], v[60:61], v[54:55]
	v_mov_b32_e32 v24, 0xfca7ab0c
	v_mov_b32_e32 v25, 0x3e928af3
	v_cndmask_b32_e64 v57, 0, v27, s[2:3]
	v_cndmask_b32_e64 v56, 0, v26, s[2:3]
	v_fmac_f64_e32 v[62:63], s[44:45], v[60:61]
	v_pk_mov_b32 v[28:29], v[24:25], v[24:25] op_sel:[0,1]
	v_mov_b32_e32 v26, 0x623fde64
	v_mov_b32_e32 v27, 0x3ec71dee
	v_fmac_f64_e32 v[28:29], s[46:47], v[62:63]
	v_pk_mov_b32 v[30:31], v[26:27], v[26:27] op_sel:[0,1]
	v_fmac_f64_e32 v[30:31], v[62:63], v[28:29]
	v_mov_b32_e32 v28, 0x7c89e6b0
	v_mov_b32_e32 v29, 0x3efa0199
	v_pk_mov_b32 v[34:35], v[28:29], v[28:29] op_sel:[0,1]
	v_fmac_f64_e32 v[34:35], v[62:63], v[30:31]
	v_mov_b32_e32 v30, 0x14761f6e
	v_mov_b32_e32 v31, 0x3f2a01a0
	v_pk_mov_b32 v[36:37], v[30:31], v[30:31] op_sel:[0,1]
	v_fmac_f64_e32 v[36:37], v[62:63], v[34:35]
	v_mul_f64 v[34:35], v[44:45], 0.5
	v_trunc_f64_e32 v[38:39], v[34:35]
	v_cmp_neq_f64_e64 s[2:3], v[38:39], v[34:35]
	v_mov_b32_e32 v34, 0x1852b7b0
	v_mov_b32_e32 v35, 0x3f56c16c
	v_pk_mov_b32 v[38:39], v[34:35], v[34:35] op_sel:[0,1]
	v_fmac_f64_e32 v[38:39], v[62:63], v[36:37]
	v_mov_b32_e32 v36, 0x11122322
	v_mov_b32_e32 v37, 0x3f811111
	v_pk_mov_b32 v[40:41], v[36:37], v[36:37] op_sel:[0,1]
	v_fmac_f64_e32 v[40:41], v[62:63], v[38:39]
	;; [unrolled: 4-line block ×5, first 2 shown]
	v_fma_f64 v[64:65], v[62:63], v[66:67], 1.0
	s_mov_b32 s48, 0
	v_fma_f64 v[62:63], v[62:63], v[64:65], 1.0
	v_cvt_i32_f64_e32 v1, v[60:61]
	s_mov_b32 s49, 0x40900000
	s_mov_b32 s50, 0
	v_ldexp_f64 v[60:61], v[62:63], v1
	s_mov_b32 s51, 0xc090cc00
	v_cmp_lt_f64_e64 s[4:5], s[48:49], v[54:55]
	v_mov_b32_e32 v59, 0x7ff00000
	v_cndmask_b32_e64 v1, v60, 0, s[4:5]
	v_cndmask_b32_e64 v46, v61, v59, s[4:5]
	v_cmp_ngt_f64_e64 s[6:7], s[50:51], v[54:55]
	v_and_b32_e32 v61, 0x7fffffff, v61
	v_cndmask_b32_e64 v55, 0, v46, s[6:7]
	v_cndmask_b32_e64 v54, 0, v1, s[6:7]
	v_cmp_eq_f64_e64 s[8:9], s[38:39], v[60:61]
	v_pk_mov_b32 v[62:63], v[54:55], v[54:55] op_sel:[0,1]
	s_or_b64 s[4:5], s[4:5], s[8:9]
	v_fmac_f64_e32 v[62:63], v[62:63], v[56:57]
	s_and_b64 s[4:5], s[6:7], s[4:5]
	v_add_f64 v[52:53], s[30:31], -v[52:53]
	v_cndmask_b32_e64 v1, v62, v54, s[4:5]
	v_cndmask_b32_e64 v46, v63, v55, s[4:5]
	v_trunc_f64_e32 v[52:53], v[52:53]
	s_movk_i32 s4, 0xffe0
	v_ldexp_f64 v[54:55], v[52:53], s4
	v_floor_f64_e32 v[54:55], v[54:55]
	v_fmac_f64_e32 v[52:53], 0xc1f00000, v[54:55]
	v_cvt_u32_f64_e32 v52, v[52:53]
	v_cvt_i32_f64_e32 v53, v[54:55]
	v_mul_lo_u32 v56, v52, s25
	v_mul_lo_u32 v57, v53, s24
	v_mad_u64_u32 v[54:55], s[4:5], v52, s24, 0
	v_add3_u32 v55, v55, v56, v57
	v_lshlrev_b64 v[54:55], 3, v[54:55]
	v_mov_b32_e32 v56, s17
	v_add_co_u32_e64 v54, s[4:5], s16, v54
	v_addc_co_u32_e64 v55, s[4:5], v56, v55, s[4:5]
	v_trunc_f64_e32 v[56:57], v[44:45]
	v_cmp_eq_f64_e64 s[4:5], v[56:57], v[44:45]
	v_cndmask_b32_e64 v47, v33, v58, s[0:1]
	s_and_b64 s[2:3], s[4:5], s[2:3]
	s_brev_b32 s6, -2
	v_cndmask_b32_e64 v56, v58, v47, s[2:3]
	v_bfi_b32 v60, s6, v46, v56
	v_cndmask_b32_e64 v46, v32, 0, s[0:1]
	v_cndmask_b32_e64 v57, 0, v1, s[4:5]
	v_mov_b32_e32 v56, 0x7ff80000
	v_cmp_gt_f64_e64 s[0:1], 0, v[46:47]
	v_cndmask_b32_e64 v61, v56, v60, s[4:5]
	v_cndmask_b32_e64 v1, v1, v57, s[0:1]
	v_and_b32_e32 v57, 0x7fffffff, v11
	v_cndmask_b32_e64 v62, v60, v61, s[0:1]
	v_cndmask_b32_e32 v61, v57, v58, vcc
	v_cndmask_b32_e64 v60, v10, 0, vcc
	v_cmp_neq_f64_e32 vcc, v[44:45], v[60:61]
	v_cmp_gt_f64_e64 s[0:1], 1.0, v[50:51]
	s_xor_b64 s[0:1], vcc, s[0:1]
	v_cndmask_b32_e64 v63, v60, 0, s[0:1]
	v_cndmask_b32_e64 v64, v61, 0, s[0:1]
	v_cmp_eq_f64_e32 vcc, 1.0, v[50:51]
	v_cndmask_b32_e32 v64, v64, v51, vcc
	v_cndmask_b32_e32 v63, v63, v50, vcc
	v_cmp_eq_f64_e32 vcc, s[38:39], v[60:61]
	v_cndmask_b32_e32 v1, v1, v63, vcc
	v_cndmask_b32_e32 v60, v62, v64, vcc
	v_cmp_gt_f64_e32 vcc, 0, v[44:45]
	v_cndmask_b32_e64 v61, v59, 0, vcc
	v_cndmask_b32_e64 v62, 0, v47, s[2:3]
	v_bfi_b32 v61, s6, v61, v62
	v_cmp_eq_f64_e32 vcc, s[38:39], v[50:51]
	v_cndmask_b32_e32 v64, v60, v61, vcc
	v_cndmask_b32_e64 v1, v1, 0, vcc
	v_add_co_u32_e32 v62, vcc, 1, v52
	v_addc_co_u32_e32 v63, vcc, 0, v53, vcc
	v_mul_lo_u32 v60, v63, v52
	v_mul_hi_u32 v50, v62, v52
	v_mul_lo_u32 v61, v62, v53
	v_add3_u32 v50, v50, v61, v60
	v_lshrrev_b32_e32 v50, 31, v50
	v_mov_b32_e32 v51, v0
	v_mad_u64_u32 v[50:51], s[0:1], v62, v52, v[50:51]
	v_add3_u32 v51, v60, v51, v61
	v_mul_lo_u32 v65, v52, s23
	v_mul_lo_u32 v66, v53, s22
	v_mad_u64_u32 v[60:61], s[0:1], v52, s22, 0
	v_add3_u32 v61, v61, v65, v66
	v_sub_co_u32_e32 v60, vcc, v22, v60
	v_subb_co_u32_e32 v61, vcc, v23, v61, vcc
	global_load_dwordx2 v[22:23], v[48:49], off
	v_ashrrev_i64 v[50:51], 1, v[50:51]
	v_add_co_u32_e32 v60, vcc, v50, v60
	v_addc_co_u32_e32 v61, vcc, v51, v61, vcc
	v_add_co_u32_e32 v48, vcc, v62, v60
	v_addc_co_u32_e32 v49, vcc, v63, v61, vcc
	v_mov_b32_e32 v50, s23
	v_sub_co_u32_e32 v65, vcc, s22, v52
	v_subb_co_u32_e32 v66, vcc, v50, v53, vcc
	v_mad_u64_u32 v[50:51], s[0:1], v60, s22, v[52:53]
	v_mul_lo_u32 v52, v60, s23
	v_mul_lo_u32 v53, v61, s22
	v_add3_u32 v51, v53, v51, v52
	v_mul_lo_u32 v52, v51, s24
	v_mul_lo_u32 v53, v50, s25
	v_mad_u64_u32 v[50:51], s[0:1], v50, s24, 0
	v_add3_u32 v51, v51, v53, v52
	v_lshlrev_b64 v[50:51], 3, v[50:51]
	v_mov_b32_e32 v52, s13
	v_add_co_u32_e32 v60, vcc, s12, v50
	v_addc_co_u32_e32 v61, vcc, v52, v51, vcc
	v_mul_lo_u32 v52, v49, s24
	v_mul_lo_u32 v53, v48, s25
	v_mad_u64_u32 v[50:51], s[0:1], v48, s24, 0
	v_add3_u32 v51, v51, v53, v52
	v_lshlrev_b64 v[50:51], 3, v[50:51]
	v_mov_b32_e32 v52, s17
	v_add_co_u32_e32 v62, vcc, s16, v50
	v_addc_co_u32_e32 v63, vcc, v52, v51, vcc
	s_lshl_b64 s[2:3], s[24:25], 3
	v_cmp_eq_f64_e64 s[0:1], 0, v[32:33]
	v_mov_b32_e32 v33, s3
	v_add_co_u32_e32 v32, vcc, s2, v54
	v_addc_co_u32_e32 v33, vcc, v55, v33, vcc
	v_add_co_u32_e32 v50, vcc, -2, v65
	v_addc_co_u32_e32 v51, vcc, -1, v66, vcc
	v_mad_u64_u32 v[48:49], s[4:5], v50, s22, v[48:49]
	v_mul_lo_u32 v50, v50, s23
	v_mul_lo_u32 v51, v51, s22
	s_load_dword s3, s[34:35], 0x4
	v_add3_u32 v49, v51, v49, v50
	v_cmp_o_f64_e32 vcc, v[46:47], v[44:45]
	v_cndmask_b32_e32 v44, 0, v1, vcc
	v_mul_lo_u32 v1, s25, v48
	v_mul_lo_u32 v49, s24, v49
	v_mad_u64_u32 v[46:47], s[4:5], s24, v48, 0
	v_add3_u32 v47, v47, v49, v1
	v_lshlrev_b64 v[46:47], 3, v[46:47]
	v_cndmask_b32_e32 v45, v56, v64, vcc
	v_mov_b32_e32 v1, s13
	v_add_co_u32_e32 v64, vcc, s12, v46
	s_waitcnt lgkmcnt(0)
	s_mul_i32 s2, s3, s33
	v_lshlrev_b64 v[20:21], 3, v[20:21]
	v_addc_co_u32_e32 v65, vcc, v1, v47, vcc
	v_add_co_u32_e32 v46, vcc, v54, v20
	s_ashr_i32 s3, s2, 31
	v_addc_co_u32_e32 v47, vcc, v55, v21, vcc
	s_mov_b64 s[8:9], 0
	v_cmp_lt_f64_e64 s[12:13], s[28:29], 1.0
	s_lshl_b64 s[16:17], s[2:3], 3
	s_branch .LBB22_4
.LBB22_3:                               ;   in Loop: Header=BB22_4 Depth=1
	s_or_b64 exec, exec, s[22:23]
	v_add_co_u32_e32 v50, vcc, v64, v20
	v_addc_co_u32_e32 v51, vcc, v65, v21, vcc
	v_add_co_u32_e32 v52, vcc, v60, v20
	v_addc_co_u32_e32 v53, vcc, v61, v21, vcc
	v_mov_b32_e32 v1, s17
	v_add_co_u32_e32 v46, vcc, s16, v46
	v_addc_co_u32_e32 v47, vcc, v47, v1, vcc
	v_cmp_ge_u64_e32 vcc, v[46:47], v[32:33]
	s_or_b64 s[8:9], vcc, s[8:9]
	v_add_co_u32_e32 v20, vcc, s16, v20
	global_store_dwordx2 v[52:53], v[48:49], off
	v_xor_b32_e32 v49, 0x80000000, v49
	v_addc_co_u32_e32 v21, vcc, v21, v1, vcc
	global_store_dwordx2 v[50:51], v[48:49], off
	s_andn2_b64 exec, exec, s[8:9]
	s_cbranch_execz .LBB22_6
.LBB22_4:                               ; =>This Inner Loop Header: Depth=1
	v_add_co_u32_e32 v48, vcc, v62, v20
	v_addc_co_u32_e32 v49, vcc, v63, v21, vcc
	v_add_co_u32_e32 v50, vcc, v54, v20
	v_addc_co_u32_e32 v51, vcc, v55, v21, vcc
	global_load_dwordx2 v[50:51], v[50:51], off
	s_nop 0
	global_load_dwordx2 v[48:49], v[48:49], off
	s_waitcnt vmcnt(0)
	v_add_f64 v[52:53], v[50:51], -v[48:49]
	v_cmp_eq_f64_e32 vcc, 0, v[52:53]
	s_and_b64 s[2:3], s[12:13], vcc
	s_or_b64 s[2:3], s[0:1], s[2:3]
	s_xor_b64 s[2:3], s[2:3], -1
	v_pk_mov_b32 v[48:49], 0, 0
	s_and_saveexec_b64 s[22:23], s[2:3]
	s_cbranch_execz .LBB22_3
; %bb.5:                                ;   in Loop: Header=BB22_4 Depth=1
	v_cmp_eq_f64_e64 vcc, |v[52:53]|, 1.0
	v_cndmask_b32_e32 v49, v11, v58, vcc
	v_cndmask_b32_e64 v48, v10, 0, vcc
	v_and_b32_e32 v1, 0x7fffffff, v53
	v_cmp_neq_f64_e64 s[2:3], 0, v[48:49]
	v_cndmask_b32_e64 v51, v58, v1, s[2:3]
	v_cndmask_b32_e64 v50, 0, v52, s[2:3]
	v_frexp_mant_f64_e32 v[66:67], v[50:51]
	v_cmp_gt_f64_e64 s[2:3], s[10:11], v[66:67]
	v_cndmask_b32_e64 v1, v58, 2.0, s[2:3]
	v_frexp_exp_i32_f64_e32 v68, v[50:51]
	v_mul_f64 v[66:67], v[66:67], v[0:1]
	v_subbrev_co_u32_e64 v1, s[2:3], 0, v68, s[2:3]
	v_add_f64 v[68:69], v[66:67], 1.0
	v_rcp_f64_e32 v[70:71], v[68:69]
	v_add_f64 v[74:75], v[68:69], -1.0
	v_add_f64 v[72:73], v[66:67], -1.0
	v_add_f64 v[66:67], v[66:67], -v[74:75]
	v_fma_f64 v[74:75], -v[68:69], v[70:71], 1.0
	v_fmac_f64_e32 v[70:71], v[74:75], v[70:71]
	v_fma_f64 v[74:75], -v[68:69], v[70:71], 1.0
	v_fmac_f64_e32 v[70:71], v[74:75], v[70:71]
	v_mul_f64 v[74:75], v[72:73], v[70:71]
	v_mul_f64 v[76:77], v[68:69], v[74:75]
	v_fma_f64 v[68:69], v[74:75], v[68:69], -v[76:77]
	v_fmac_f64_e32 v[68:69], v[74:75], v[66:67]
	v_add_f64 v[66:67], v[76:77], v[68:69]
	v_add_f64 v[78:79], v[72:73], -v[66:67]
	v_add_f64 v[76:77], v[66:67], -v[76:77]
	;; [unrolled: 1-line block ×5, first 2 shown]
	v_add_f64 v[66:67], v[68:69], v[66:67]
	v_add_f64 v[66:67], v[78:79], v[66:67]
	v_mul_f64 v[66:67], v[70:71], v[66:67]
	v_add_f64 v[68:69], v[74:75], v[66:67]
	v_add_f64 v[70:71], v[68:69], -v[74:75]
	v_add_f64 v[66:67], v[66:67], -v[70:71]
	v_mul_f64 v[70:71], v[68:69], v[68:69]
	v_fma_f64 v[72:73], v[68:69], v[68:69], -v[70:71]
	v_add_f64 v[74:75], v[66:67], v[66:67]
	v_fmac_f64_e32 v[72:73], v[68:69], v[74:75]
	v_add_f64 v[74:75], v[70:71], v[72:73]
	v_add_f64 v[70:71], v[74:75], -v[70:71]
	v_add_f64 v[70:71], v[72:73], -v[70:71]
	v_pk_mov_b32 v[72:73], v[2:3], v[2:3] op_sel:[0,1]
	v_fmac_f64_e32 v[72:73], s[18:19], v[74:75]
	v_pk_mov_b32 v[76:77], v[4:5], v[4:5] op_sel:[0,1]
	v_fmac_f64_e32 v[76:77], v[74:75], v[72:73]
	;; [unrolled: 2-line block ×8, first 2 shown]
	v_cvt_f64_i32_e32 v[72:73], v1
	v_mul_f64 v[78:79], v[72:73], s[14:15]
	v_fma_f64 v[80:81], v[72:73], s[14:15], -v[78:79]
	v_fmac_f64_e32 v[80:81], s[20:21], v[72:73]
	v_add_f64 v[72:73], v[78:79], v[80:81]
	v_add_f64 v[78:79], v[72:73], -v[78:79]
	v_add_f64 v[78:79], v[80:81], -v[78:79]
	v_mul_f64 v[80:81], v[68:69], v[74:75]
	v_fma_f64 v[82:83], v[74:75], v[68:69], -v[80:81]
	v_mul_f64 v[84:85], v[74:75], v[76:77]
	v_fmac_f64_e32 v[82:83], v[74:75], v[66:67]
	v_fma_f64 v[74:75], v[74:75], v[76:77], -v[84:85]
	v_fmac_f64_e32 v[74:75], v[70:71], v[76:77]
	v_fmac_f64_e32 v[82:83], v[70:71], v[68:69]
	v_add_f64 v[70:71], v[84:85], v[74:75]
	v_add_f64 v[76:77], v[70:71], -v[84:85]
	v_add_f64 v[74:75], v[74:75], -v[76:77]
	s_mov_b32 s26, s10
	v_add_f64 v[76:77], v[70:71], s[10:11]
	v_add_f64 v[84:85], v[76:77], s[26:27]
	v_add_f64 v[70:71], v[70:71], -v[84:85]
	v_add_f64 v[74:75], v[74:75], s[36:37]
	v_add_f64 v[70:71], v[74:75], v[70:71]
	;; [unrolled: 1-line block ×3, first 2 shown]
	v_add_f64 v[76:77], v[76:77], -v[74:75]
	v_add_f64 v[70:71], v[70:71], v[76:77]
	v_add_f64 v[76:77], v[80:81], v[82:83]
	v_mul_f64 v[84:85], v[76:77], v[74:75]
	v_fma_f64 v[86:87], v[76:77], v[74:75], -v[84:85]
	v_fmac_f64_e32 v[86:87], v[76:77], v[70:71]
	v_add_f64 v[70:71], v[76:77], -v[80:81]
	v_add_f64 v[70:71], v[82:83], -v[70:71]
	v_fmac_f64_e32 v[86:87], v[70:71], v[74:75]
	v_ldexp_f64 v[68:69], v[68:69], 1
	v_add_f64 v[70:71], v[84:85], v[86:87]
	v_add_f64 v[74:75], v[70:71], -v[84:85]
	v_add_f64 v[76:77], v[68:69], v[70:71]
	v_ldexp_f64 v[66:67], v[66:67], 1
	v_add_f64 v[74:75], v[86:87], -v[74:75]
	v_add_f64 v[68:69], v[76:77], -v[68:69]
	;; [unrolled: 1-line block ×3, first 2 shown]
	v_add_f64 v[66:67], v[66:67], v[74:75]
	v_add_f64 v[66:67], v[66:67], v[68:69]
	;; [unrolled: 1-line block ×3, first 2 shown]
	v_add_f64 v[70:71], v[68:69], -v[76:77]
	v_add_f64 v[66:67], v[66:67], -v[70:71]
	v_add_f64 v[70:71], v[72:73], v[68:69]
	v_add_f64 v[74:75], v[70:71], -v[72:73]
	v_add_f64 v[76:77], v[70:71], -v[74:75]
	v_add_f64 v[72:73], v[72:73], -v[76:77]
	v_add_f64 v[68:69], v[68:69], -v[74:75]
	v_add_f64 v[68:69], v[68:69], v[72:73]
	v_add_f64 v[72:73], v[78:79], v[66:67]
	v_add_f64 v[74:75], v[72:73], -v[78:79]
	v_add_f64 v[68:69], v[72:73], v[68:69]
	v_add_f64 v[76:77], v[72:73], -v[74:75]
	v_add_f64 v[72:73], v[70:71], v[68:69]
	v_add_f64 v[76:77], v[78:79], -v[76:77]
	v_add_f64 v[66:67], v[66:67], -v[74:75]
	v_add_f64 v[70:71], v[72:73], -v[70:71]
	v_add_f64 v[66:67], v[66:67], v[76:77]
	v_add_f64 v[68:69], v[68:69], -v[70:71]
	v_add_f64 v[66:67], v[66:67], v[68:69]
	v_add_f64 v[68:69], v[72:73], v[66:67]
	v_add_f64 v[70:71], v[68:69], -v[72:73]
	v_cmp_lt_f64_e64 s[2:3], 0, v[52:53]
	v_add_f64 v[66:67], v[66:67], -v[70:71]
	v_mul_f64 v[70:71], v[48:49], v[68:69]
	v_cndmask_b32_e64 v1, 0, 1, s[2:3]
	v_cmp_gt_f64_e64 s[2:3], 0, v[52:53]
	v_fma_f64 v[68:69], v[48:49], v[68:69], -v[70:71]
	v_subbrev_co_u32_e64 v1, s[2:3], 0, v1, s[2:3]
	v_fmac_f64_e32 v[68:69], v[48:49], v[66:67]
	v_add_f64 v[66:67], v[70:71], v[68:69]
	v_cmp_class_f64_e64 s[2:3], v[70:71], s52
	v_add_f64 v[72:73], v[66:67], -v[70:71]
	v_cndmask_b32_e64 v67, v67, v71, s[2:3]
	v_cndmask_b32_e64 v66, v66, v70, s[2:3]
	v_mul_f64 v[70:71], v[66:67], s[40:41]
	v_rndne_f64_e32 v[70:71], v[70:71]
	s_mov_b32 s42, s14
	v_add_f64 v[68:69], v[68:69], -v[72:73]
	v_fma_f64 v[72:73], s[42:43], v[70:71], v[66:67]
	s_mov_b32 s44, s20
	v_fmac_f64_e32 v[72:73], s[44:45], v[70:71]
	v_pk_mov_b32 v[74:75], v[24:25], v[24:25] op_sel:[0,1]
	v_fmac_f64_e32 v[74:75], s[46:47], v[72:73]
	v_pk_mov_b32 v[76:77], v[26:27], v[26:27] op_sel:[0,1]
	;; [unrolled: 2-line block ×9, first 2 shown]
	v_fmac_f64_e32 v[74:75], v[72:73], v[76:77]
	v_fma_f64 v[74:75], v[72:73], v[74:75], 1.0
	v_cvt_f64_i32_e32 v[52:53], v1
	v_cmp_neq_f64_e64 s[2:3], |v[66:67]|, s[38:39]
	v_fma_f64 v[72:73], v[72:73], v[74:75], 1.0
	v_cvt_i32_f64_e32 v1, v[70:71]
	v_cndmask_b32_e64 v69, 0, v69, s[2:3]
	v_cndmask_b32_e64 v68, 0, v68, s[2:3]
	v_ldexp_f64 v[70:71], v[72:73], v1
	v_cmp_lt_f64_e64 s[2:3], s[48:49], v[66:67]
	v_cndmask_b32_e64 v1, v70, 0, s[2:3]
	v_cndmask_b32_e64 v72, v71, v59, s[2:3]
	v_cmp_ngt_f64_e64 s[4:5], s[50:51], v[66:67]
	v_and_b32_e32 v71, 0x7fffffff, v71
	v_cndmask_b32_e64 v67, 0, v72, s[4:5]
	v_cndmask_b32_e64 v66, 0, v1, s[4:5]
	v_cmp_eq_f64_e64 s[6:7], s[38:39], v[70:71]
	v_pk_mov_b32 v[72:73], v[66:67], v[66:67] op_sel:[0,1]
	s_or_b64 s[2:3], s[2:3], s[6:7]
	v_fmac_f64_e32 v[72:73], v[72:73], v[68:69]
	s_and_b64 s[2:3], s[4:5], s[2:3]
	v_cndmask_b32_e64 v1, v73, v67, s[2:3]
	v_cndmask_b32_e64 v68, v72, v66, s[2:3]
	v_cndmask_b32_e32 v67, v57, v58, vcc
	v_cndmask_b32_e64 v66, v10, 0, vcc
	v_cmp_neq_f64_e32 vcc, v[48:49], v[66:67]
	v_cmp_gt_f64_e64 s[2:3], 1.0, v[50:51]
	s_xor_b64 s[2:3], vcc, s[2:3]
	v_cndmask_b32_e64 v69, v67, 0, s[2:3]
	v_cndmask_b32_e64 v70, v66, 0, s[2:3]
	v_cmp_eq_f64_e32 vcc, 1.0, v[50:51]
	v_and_b32_e32 v1, 0x7fffffff, v1
	v_cndmask_b32_e32 v70, v70, v50, vcc
	v_cndmask_b32_e32 v69, v69, v51, vcc
	v_cmp_eq_f64_e32 vcc, s[38:39], v[66:67]
	v_cmp_eq_f64_e64 s[2:3], 0, v[50:51]
	v_cmp_gt_f64_e64 s[4:5], 0, v[48:49]
	v_cndmask_b32_e32 v1, v1, v69, vcc
	v_cndmask_b32_e32 v66, v68, v70, vcc
	v_cmp_eq_f64_e32 vcc, s[38:39], v[50:51]
	s_xor_b64 s[4:5], s[4:5], s[2:3]
	v_cndmask_b32_e64 v67, v59, 0, s[4:5]
	s_or_b64 vcc, vcc, s[2:3]
	v_cndmask_b32_e64 v66, v66, 0, vcc
	v_cndmask_b32_e32 v1, v1, v67, vcc
	v_cmp_o_f64_e32 vcc, v[50:51], v[48:49]
	v_cndmask_b32_e32 v49, v56, v1, vcc
	v_cndmask_b32_e32 v48, 0, v66, vcc
	v_mul_f64 v[48:49], v[48:49], v[52:53]
	v_mul_f64 v[48:49], v[22:23], v[48:49]
	v_div_scale_f64 v[50:51], s[2:3], v[44:45], v[44:45], v[48:49]
	v_rcp_f64_e32 v[52:53], v[50:51]
	v_fma_f64 v[66:67], -v[50:51], v[52:53], 1.0
	v_fmac_f64_e32 v[52:53], v[52:53], v[66:67]
	v_fma_f64 v[66:67], -v[50:51], v[52:53], 1.0
	v_fmac_f64_e32 v[52:53], v[52:53], v[66:67]
	v_div_scale_f64 v[66:67], vcc, v[48:49], v[44:45], v[48:49]
	v_mul_f64 v[68:69], v[66:67], v[52:53]
	v_fma_f64 v[50:51], -v[50:51], v[68:69], v[66:67]
	s_nop 1
	v_div_fmas_f64 v[50:51], v[50:51], v[52:53], v[68:69]
	v_div_fixup_f64 v[48:49], v[50:51], v[44:45], v[48:49]
	s_branch .LBB22_3
.LBB22_6:
	s_endpgm
	.section	.rodata,"a",@progbits
	.p2align	6, 0x0
	.amdhsa_kernel _ZN2at6native12_GLOBAL__N_131pdist_backward_kernel_cuda_implIdNS1_5distsIdE6lt_twoEEEvPT_PKS6_S9_S9_llllS6_dd
		.amdhsa_group_segment_fixed_size 0
		.amdhsa_private_segment_fixed_size 0
		.amdhsa_kernarg_size 344
		.amdhsa_user_sgpr_count 6
		.amdhsa_user_sgpr_private_segment_buffer 1
		.amdhsa_user_sgpr_dispatch_ptr 0
		.amdhsa_user_sgpr_queue_ptr 0
		.amdhsa_user_sgpr_kernarg_segment_ptr 1
		.amdhsa_user_sgpr_dispatch_id 0
		.amdhsa_user_sgpr_flat_scratch_init 0
		.amdhsa_user_sgpr_kernarg_preload_length 0
		.amdhsa_user_sgpr_kernarg_preload_offset 0
		.amdhsa_user_sgpr_private_segment_size 0
		.amdhsa_uses_dynamic_stack 0
		.amdhsa_system_sgpr_private_segment_wavefront_offset 0
		.amdhsa_system_sgpr_workgroup_id_x 1
		.amdhsa_system_sgpr_workgroup_id_y 1
		.amdhsa_system_sgpr_workgroup_id_z 0
		.amdhsa_system_sgpr_workgroup_info 0
		.amdhsa_system_vgpr_workitem_id 1
		.amdhsa_next_free_vgpr 88
		.amdhsa_next_free_sgpr 53
		.amdhsa_accum_offset 88
		.amdhsa_reserve_vcc 1
		.amdhsa_reserve_flat_scratch 0
		.amdhsa_float_round_mode_32 0
		.amdhsa_float_round_mode_16_64 0
		.amdhsa_float_denorm_mode_32 3
		.amdhsa_float_denorm_mode_16_64 3
		.amdhsa_dx10_clamp 1
		.amdhsa_ieee_mode 1
		.amdhsa_fp16_overflow 0
		.amdhsa_tg_split 0
		.amdhsa_exception_fp_ieee_invalid_op 0
		.amdhsa_exception_fp_denorm_src 0
		.amdhsa_exception_fp_ieee_div_zero 0
		.amdhsa_exception_fp_ieee_overflow 0
		.amdhsa_exception_fp_ieee_underflow 0
		.amdhsa_exception_fp_ieee_inexact 0
		.amdhsa_exception_int_div_zero 0
	.end_amdhsa_kernel
	.section	.text._ZN2at6native12_GLOBAL__N_131pdist_backward_kernel_cuda_implIdNS1_5distsIdE6lt_twoEEEvPT_PKS6_S9_S9_llllS6_dd,"axG",@progbits,_ZN2at6native12_GLOBAL__N_131pdist_backward_kernel_cuda_implIdNS1_5distsIdE6lt_twoEEEvPT_PKS6_S9_S9_llllS6_dd,comdat
.Lfunc_end22:
	.size	_ZN2at6native12_GLOBAL__N_131pdist_backward_kernel_cuda_implIdNS1_5distsIdE6lt_twoEEEvPT_PKS6_S9_S9_llllS6_dd, .Lfunc_end22-_ZN2at6native12_GLOBAL__N_131pdist_backward_kernel_cuda_implIdNS1_5distsIdE6lt_twoEEEvPT_PKS6_S9_S9_llllS6_dd
                                        ; -- End function
	.section	.AMDGPU.csdata,"",@progbits
; Kernel info:
; codeLenInByte = 4672
; NumSgprs: 57
; NumVgprs: 88
; NumAgprs: 0
; TotalNumVgprs: 88
; ScratchSize: 0
; MemoryBound: 0
; FloatMode: 240
; IeeeMode: 1
; LDSByteSize: 0 bytes/workgroup (compile time only)
; SGPRBlocks: 7
; VGPRBlocks: 10
; NumSGPRsForWavesPerEU: 57
; NumVGPRsForWavesPerEU: 88
; AccumOffset: 88
; Occupancy: 5
; WaveLimiterHint : 0
; COMPUTE_PGM_RSRC2:SCRATCH_EN: 0
; COMPUTE_PGM_RSRC2:USER_SGPR: 6
; COMPUTE_PGM_RSRC2:TRAP_HANDLER: 0
; COMPUTE_PGM_RSRC2:TGID_X_EN: 1
; COMPUTE_PGM_RSRC2:TGID_Y_EN: 1
; COMPUTE_PGM_RSRC2:TGID_Z_EN: 0
; COMPUTE_PGM_RSRC2:TIDIG_COMP_CNT: 1
; COMPUTE_PGM_RSRC3_GFX90A:ACCUM_OFFSET: 21
; COMPUTE_PGM_RSRC3_GFX90A:TG_SPLIT: 0
	.section	.text._ZN2at6native12_GLOBAL__N_131pdist_backward_kernel_cuda_implIdNS1_5distsIdE3twoEEEvPT_PKS6_S9_S9_llllS6_dd,"axG",@progbits,_ZN2at6native12_GLOBAL__N_131pdist_backward_kernel_cuda_implIdNS1_5distsIdE3twoEEEvPT_PKS6_S9_S9_llllS6_dd,comdat
	.globl	_ZN2at6native12_GLOBAL__N_131pdist_backward_kernel_cuda_implIdNS1_5distsIdE3twoEEEvPT_PKS6_S9_S9_llllS6_dd ; -- Begin function _ZN2at6native12_GLOBAL__N_131pdist_backward_kernel_cuda_implIdNS1_5distsIdE3twoEEEvPT_PKS6_S9_S9_llllS6_dd
	.p2align	8
	.type	_ZN2at6native12_GLOBAL__N_131pdist_backward_kernel_cuda_implIdNS1_5distsIdE3twoEEEvPT_PKS6_S9_S9_llllS6_dd,@function
_ZN2at6native12_GLOBAL__N_131pdist_backward_kernel_cuda_implIdNS1_5distsIdE3twoEEEvPT_PKS6_S9_S9_llllS6_dd: ; @_ZN2at6native12_GLOBAL__N_131pdist_backward_kernel_cuda_implIdNS1_5distsIdE3twoEEEvPT_PKS6_S9_S9_llllS6_dd
; %bb.0:
	s_load_dwordx16 s[8:23], s[4:5], 0x0
	s_load_dword s2, s[4:5], 0x64
	s_add_u32 s0, s4, 0x58
	s_addc_u32 s1, s5, 0
	v_and_b32_e32 v2, 0x3ff, v0
	v_mov_b32_e32 v3, 0
	s_waitcnt lgkmcnt(0)
	s_and_b32 s3, s2, 0xffff
	v_mov_b32_e32 v1, s6
	v_mad_u64_u32 v[10:11], s[24:25], s3, v1, v[2:3]
	v_cmp_gt_i64_e32 vcc, s[22:23], v[10:11]
	s_and_saveexec_b64 s[22:23], vcc
	s_cbranch_execz .LBB23_6
; %bb.1:
	s_lshr_b32 s2, s2, 16
	s_mul_i32 s7, s7, s2
	v_bfe_u32 v0, v0, 10, 10
	v_add_u32_e32 v6, s7, v0
	v_ashrrev_i32_e32 v7, 31, v6
	v_cmp_gt_i64_e32 vcc, s[20:21], v[6:7]
	s_and_b64 exec, exec, vcc
	s_cbranch_execz .LBB23_6
; %bb.2:
	s_load_dwordx4 s[4:7], s[4:5], 0x48
	v_lshlrev_b64 v[0:1], 1, v[10:11]
	v_cvt_f64_u32_e32 v[2:3], v1
	v_ldexp_f64 v[2:3], v[2:3], 32
	v_cvt_f64_u32_e32 v[0:1], v0
	v_add_f64 v[0:1], v[2:3], v[0:1]
	s_waitcnt lgkmcnt(0)
	v_add_f64 v[0:1], s[6:7], -v[0:1]
	s_mov_b32 s6, 0
	s_brev_b32 s7, 8
	v_cmp_gt_f64_e32 vcc, s[6:7], v[0:1]
	v_cndmask_b32_e64 v2, 0, 1, vcc
	v_lshlrev_b32_e32 v2, 8, v2
	v_ldexp_f64 v[0:1], v[0:1], v2
	v_rsq_f64_e32 v[2:3], v[0:1]
	s_load_dword s3, s[0:1], 0x4
	s_movk_i32 s0, 0xffe0
	v_lshlrev_b64 v[6:7], 3, v[6:7]
	v_mul_f64 v[4:5], v[0:1], v[2:3]
	v_mul_f64 v[2:3], v[2:3], 0.5
	v_fma_f64 v[8:9], -v[2:3], v[4:5], 0.5
	v_fmac_f64_e32 v[4:5], v[4:5], v[8:9]
	v_fma_f64 v[12:13], -v[4:5], v[4:5], v[0:1]
	v_fmac_f64_e32 v[2:3], v[2:3], v[8:9]
	v_fmac_f64_e32 v[4:5], v[12:13], v[2:3]
	v_fma_f64 v[8:9], -v[4:5], v[4:5], v[0:1]
	v_fmac_f64_e32 v[4:5], v[8:9], v[2:3]
	v_mov_b32_e32 v2, 0xffffff80
	v_cndmask_b32_e32 v2, 0, v2, vcc
	v_ldexp_f64 v[2:3], v[4:5], v2
	v_mov_b32_e32 v4, 0x260
	v_cmp_class_f64_e32 vcc, v[0:1], v4
	v_cndmask_b32_e32 v1, v3, v1, vcc
	v_cndmask_b32_e32 v0, v2, v0, vcc
	v_add_f64 v[0:1], s[4:5], -v[0:1]
	v_trunc_f64_e32 v[0:1], v[0:1]
	v_ldexp_f64 v[2:3], v[0:1], s0
	v_floor_f64_e32 v[2:3], v[2:3]
	v_fmac_f64_e32 v[0:1], 0xc1f00000, v[2:3]
	v_cvt_u32_f64_e32 v16, v[0:1]
	v_cvt_i32_f64_e32 v17, v[2:3]
	v_mul_lo_u32 v2, v11, s16
	v_mul_lo_u32 v3, v10, s17
	v_mad_u64_u32 v[0:1], s[0:1], v10, s16, 0
	v_add3_u32 v1, v1, v3, v2
	v_lshlrev_b64 v[0:1], 3, v[0:1]
	v_mov_b32_e32 v2, s11
	v_add_co_u32_e32 v0, vcc, s10, v0
	v_addc_co_u32_e32 v1, vcc, v2, v1, vcc
	v_lshlrev_b64 v[2:3], 3, v[10:11]
	v_mov_b32_e32 v4, s15
	v_add_co_u32_e32 v2, vcc, s14, v2
	v_addc_co_u32_e32 v3, vcc, v4, v3, vcc
	global_load_dwordx2 v[2:3], v[2:3], off
	v_mul_lo_u32 v8, v16, s21
	global_load_dwordx2 v[0:1], v[0:1], off
	v_mad_u64_u32 v[4:5], s[0:1], v16, s20, 0
	v_mul_lo_u32 v9, v17, s20
	v_add3_u32 v5, v5, v8, v9
	v_lshlrev_b64 v[4:5], 3, v[4:5]
	v_mov_b32_e32 v8, s13
	v_add_co_u32_e32 v12, vcc, s12, v4
	v_addc_co_u32_e32 v13, vcc, v8, v5, vcc
	s_lshl_b64 s[0:1], s[20:21], 3
	v_mov_b32_e32 v5, s1
	v_add_co_u32_e32 v4, vcc, s0, v12
	v_addc_co_u32_e32 v5, vcc, v13, v5, vcc
	v_add_co_u32_e32 v8, vcc, v12, v6
	v_addc_co_u32_e32 v9, vcc, v13, v7, vcc
	;; [unrolled: 2-line block ×3, first 2 shown]
	v_mul_lo_u32 v18, v21, v16
	v_mul_hi_u32 v14, v20, v16
	v_mul_lo_u32 v19, v20, v17
	v_add3_u32 v14, v14, v19, v18
	v_mov_b32_e32 v15, 0
	v_lshrrev_b32_e32 v14, 31, v14
	v_mad_u64_u32 v[14:15], s[0:1], v20, v16, v[14:15]
	v_add3_u32 v15, v18, v15, v19
	v_mul_lo_u32 v22, v16, s19
	v_mad_u64_u32 v[18:19], s[0:1], v16, s18, 0
	v_mul_lo_u32 v23, v17, s18
	v_add3_u32 v19, v19, v22, v23
	v_sub_co_u32_e32 v10, vcc, v10, v18
	v_ashrrev_i64 v[14:15], 1, v[14:15]
	v_subb_co_u32_e32 v11, vcc, v11, v19, vcc
	v_add_co_u32_e32 v14, vcc, v14, v10
	v_addc_co_u32_e32 v15, vcc, v15, v11, vcc
	v_add_co_u32_e32 v10, vcc, v20, v14
	v_addc_co_u32_e32 v11, vcc, v21, v15, vcc
	v_mov_b32_e32 v18, s19
	v_sub_co_u32_e32 v19, vcc, s18, v16
	v_subb_co_u32_e32 v18, vcc, v18, v17, vcc
	v_add_co_u32_e32 v20, vcc, -2, v19
	v_addc_co_u32_e32 v21, vcc, -1, v18, vcc
	v_mad_u64_u32 v[18:19], s[0:1], v20, s18, v[10:11]
	v_mul_lo_u32 v20, v20, s19
	v_mul_lo_u32 v21, v21, s18
	v_add3_u32 v19, v21, v19, v20
	v_mul_lo_u32 v20, v14, s19
	v_mul_lo_u32 v21, v15, s18
	v_mad_u64_u32 v[14:15], s[0:1], v14, s18, v[16:17]
	v_add3_u32 v15, v21, v15, v20
	v_mul_lo_u32 v16, v15, s20
	v_mul_lo_u32 v17, v14, s21
	v_mad_u64_u32 v[14:15], s[0:1], v14, s20, 0
	v_add3_u32 v15, v15, v17, v16
	v_lshlrev_b64 v[14:15], 3, v[14:15]
	v_mov_b32_e32 v16, s9
	v_add_co_u32_e32 v14, vcc, s8, v14
	v_addc_co_u32_e32 v15, vcc, v16, v15, vcc
	v_mul_lo_u32 v16, v11, s20
	v_mul_lo_u32 v17, v10, s21
	v_mad_u64_u32 v[10:11], s[0:1], v10, s20, 0
	v_add3_u32 v11, v11, v17, v16
	v_lshlrev_b64 v[10:11], 3, v[10:11]
	v_mov_b32_e32 v17, s13
	v_add_co_u32_e32 v16, vcc, s12, v10
	v_addc_co_u32_e32 v17, vcc, v17, v11, vcc
	v_mul_lo_u32 v20, s21, v18
	v_mul_lo_u32 v19, s20, v19
	v_mad_u64_u32 v[10:11], s[6:7], s20, v18, 0
	v_add3_u32 v11, v11, v19, v20
	s_waitcnt lgkmcnt(0)
	s_mul_i32 s4, s3, s2
	v_lshlrev_b64 v[10:11], 3, v[10:11]
	s_ashr_i32 s5, s4, 31
	v_mov_b32_e32 v19, s9
	v_add_co_u32_e32 v18, vcc, s8, v10
	s_mov_b64 s[2:3], 0
	s_waitcnt vmcnt(1)
	v_cmp_neq_f64_e64 s[0:1], 0, v[2:3]
	v_addc_co_u32_e32 v19, vcc, v19, v11, vcc
	s_lshl_b64 s[4:5], s[4:5], 3
	s_branch .LBB23_4
.LBB23_3:                               ;   in Loop: Header=BB23_4 Depth=1
	s_or_b64 exec, exec, s[6:7]
	v_add_co_u32_e32 v20, vcc, v18, v6
	v_addc_co_u32_e32 v21, vcc, v19, v7, vcc
	v_add_co_u32_e32 v22, vcc, v14, v6
	v_addc_co_u32_e32 v23, vcc, v15, v7, vcc
	global_store_dwordx2 v[22:23], v[10:11], off
	v_xor_b32_e32 v11, 0x80000000, v11
	global_store_dwordx2 v[20:21], v[10:11], off
	v_mov_b32_e32 v10, s5
	v_add_co_u32_e32 v8, vcc, s4, v8
	v_addc_co_u32_e32 v9, vcc, v9, v10, vcc
	v_cmp_ge_u64_e32 vcc, v[8:9], v[4:5]
	s_or_b64 s[2:3], vcc, s[2:3]
	v_add_co_u32_e32 v6, vcc, s4, v6
	v_addc_co_u32_e32 v7, vcc, v7, v10, vcc
	s_andn2_b64 exec, exec, s[2:3]
	s_cbranch_execz .LBB23_6
.LBB23_4:                               ; =>This Inner Loop Header: Depth=1
	v_pk_mov_b32 v[10:11], 0, 0
	s_and_saveexec_b64 s[6:7], s[0:1]
	s_cbranch_execz .LBB23_3
; %bb.5:                                ;   in Loop: Header=BB23_4 Depth=1
	v_add_co_u32_e32 v10, vcc, v16, v6
	v_addc_co_u32_e32 v11, vcc, v17, v7, vcc
	v_add_co_u32_e32 v20, vcc, v12, v6
	v_addc_co_u32_e32 v21, vcc, v13, v7, vcc
	global_load_dwordx2 v[22:23], v[20:21], off
	global_load_dwordx2 v[24:25], v[10:11], off
	s_waitcnt vmcnt(0)
	v_add_f64 v[10:11], v[22:23], -v[24:25]
	v_mul_f64 v[10:11], v[0:1], v[10:11]
	v_div_scale_f64 v[20:21], s[8:9], v[2:3], v[2:3], v[10:11]
	v_rcp_f64_e32 v[22:23], v[20:21]
	v_div_scale_f64 v[24:25], vcc, v[10:11], v[2:3], v[10:11]
	v_fma_f64 v[26:27], -v[20:21], v[22:23], 1.0
	v_fmac_f64_e32 v[22:23], v[22:23], v[26:27]
	v_fma_f64 v[26:27], -v[20:21], v[22:23], 1.0
	v_fmac_f64_e32 v[22:23], v[22:23], v[26:27]
	v_mul_f64 v[26:27], v[24:25], v[22:23]
	v_fma_f64 v[20:21], -v[20:21], v[26:27], v[24:25]
	v_div_fmas_f64 v[20:21], v[20:21], v[22:23], v[26:27]
	v_div_fixup_f64 v[10:11], v[20:21], v[2:3], v[10:11]
	s_branch .LBB23_3
.LBB23_6:
	s_endpgm
	.section	.rodata,"a",@progbits
	.p2align	6, 0x0
	.amdhsa_kernel _ZN2at6native12_GLOBAL__N_131pdist_backward_kernel_cuda_implIdNS1_5distsIdE3twoEEEvPT_PKS6_S9_S9_llllS6_dd
		.amdhsa_group_segment_fixed_size 0
		.amdhsa_private_segment_fixed_size 0
		.amdhsa_kernarg_size 344
		.amdhsa_user_sgpr_count 6
		.amdhsa_user_sgpr_private_segment_buffer 1
		.amdhsa_user_sgpr_dispatch_ptr 0
		.amdhsa_user_sgpr_queue_ptr 0
		.amdhsa_user_sgpr_kernarg_segment_ptr 1
		.amdhsa_user_sgpr_dispatch_id 0
		.amdhsa_user_sgpr_flat_scratch_init 0
		.amdhsa_user_sgpr_kernarg_preload_length 0
		.amdhsa_user_sgpr_kernarg_preload_offset 0
		.amdhsa_user_sgpr_private_segment_size 0
		.amdhsa_uses_dynamic_stack 0
		.amdhsa_system_sgpr_private_segment_wavefront_offset 0
		.amdhsa_system_sgpr_workgroup_id_x 1
		.amdhsa_system_sgpr_workgroup_id_y 1
		.amdhsa_system_sgpr_workgroup_id_z 0
		.amdhsa_system_sgpr_workgroup_info 0
		.amdhsa_system_vgpr_workitem_id 1
		.amdhsa_next_free_vgpr 28
		.amdhsa_next_free_sgpr 26
		.amdhsa_accum_offset 28
		.amdhsa_reserve_vcc 1
		.amdhsa_reserve_flat_scratch 0
		.amdhsa_float_round_mode_32 0
		.amdhsa_float_round_mode_16_64 0
		.amdhsa_float_denorm_mode_32 3
		.amdhsa_float_denorm_mode_16_64 3
		.amdhsa_dx10_clamp 1
		.amdhsa_ieee_mode 1
		.amdhsa_fp16_overflow 0
		.amdhsa_tg_split 0
		.amdhsa_exception_fp_ieee_invalid_op 0
		.amdhsa_exception_fp_denorm_src 0
		.amdhsa_exception_fp_ieee_div_zero 0
		.amdhsa_exception_fp_ieee_overflow 0
		.amdhsa_exception_fp_ieee_underflow 0
		.amdhsa_exception_fp_ieee_inexact 0
		.amdhsa_exception_int_div_zero 0
	.end_amdhsa_kernel
	.section	.text._ZN2at6native12_GLOBAL__N_131pdist_backward_kernel_cuda_implIdNS1_5distsIdE3twoEEEvPT_PKS6_S9_S9_llllS6_dd,"axG",@progbits,_ZN2at6native12_GLOBAL__N_131pdist_backward_kernel_cuda_implIdNS1_5distsIdE3twoEEEvPT_PKS6_S9_S9_llllS6_dd,comdat
.Lfunc_end23:
	.size	_ZN2at6native12_GLOBAL__N_131pdist_backward_kernel_cuda_implIdNS1_5distsIdE3twoEEEvPT_PKS6_S9_S9_llllS6_dd, .Lfunc_end23-_ZN2at6native12_GLOBAL__N_131pdist_backward_kernel_cuda_implIdNS1_5distsIdE3twoEEEvPT_PKS6_S9_S9_llllS6_dd
                                        ; -- End function
	.section	.AMDGPU.csdata,"",@progbits
; Kernel info:
; codeLenInByte = 1156
; NumSgprs: 30
; NumVgprs: 28
; NumAgprs: 0
; TotalNumVgprs: 28
; ScratchSize: 0
; MemoryBound: 0
; FloatMode: 240
; IeeeMode: 1
; LDSByteSize: 0 bytes/workgroup (compile time only)
; SGPRBlocks: 3
; VGPRBlocks: 3
; NumSGPRsForWavesPerEU: 30
; NumVGPRsForWavesPerEU: 28
; AccumOffset: 28
; Occupancy: 8
; WaveLimiterHint : 0
; COMPUTE_PGM_RSRC2:SCRATCH_EN: 0
; COMPUTE_PGM_RSRC2:USER_SGPR: 6
; COMPUTE_PGM_RSRC2:TRAP_HANDLER: 0
; COMPUTE_PGM_RSRC2:TGID_X_EN: 1
; COMPUTE_PGM_RSRC2:TGID_Y_EN: 1
; COMPUTE_PGM_RSRC2:TGID_Z_EN: 0
; COMPUTE_PGM_RSRC2:TIDIG_COMP_CNT: 1
; COMPUTE_PGM_RSRC3_GFX90A:ACCUM_OFFSET: 6
; COMPUTE_PGM_RSRC3_GFX90A:TG_SPLIT: 0
	.section	.text._ZN2at6native12_GLOBAL__N_131pdist_backward_kernel_cuda_implIdNS1_5distsIdE3infEEEvPT_PKS6_S9_S9_llllS6_dd,"axG",@progbits,_ZN2at6native12_GLOBAL__N_131pdist_backward_kernel_cuda_implIdNS1_5distsIdE3infEEEvPT_PKS6_S9_S9_llllS6_dd,comdat
	.globl	_ZN2at6native12_GLOBAL__N_131pdist_backward_kernel_cuda_implIdNS1_5distsIdE3infEEEvPT_PKS6_S9_S9_llllS6_dd ; -- Begin function _ZN2at6native12_GLOBAL__N_131pdist_backward_kernel_cuda_implIdNS1_5distsIdE3infEEEvPT_PKS6_S9_S9_llllS6_dd
	.p2align	8
	.type	_ZN2at6native12_GLOBAL__N_131pdist_backward_kernel_cuda_implIdNS1_5distsIdE3infEEEvPT_PKS6_S9_S9_llllS6_dd,@function
_ZN2at6native12_GLOBAL__N_131pdist_backward_kernel_cuda_implIdNS1_5distsIdE3infEEEvPT_PKS6_S9_S9_llllS6_dd: ; @_ZN2at6native12_GLOBAL__N_131pdist_backward_kernel_cuda_implIdNS1_5distsIdE3infEEEvPT_PKS6_S9_S9_llllS6_dd
; %bb.0:
	s_load_dwordx16 s[8:23], s[4:5], 0x0
	s_load_dword s2, s[4:5], 0x64
	s_add_u32 s0, s4, 0x58
	s_addc_u32 s1, s5, 0
	v_and_b32_e32 v2, 0x3ff, v0
	v_mov_b32_e32 v3, 0
	s_waitcnt lgkmcnt(0)
	s_and_b32 s3, s2, 0xffff
	v_mov_b32_e32 v1, s6
	v_mad_u64_u32 v[12:13], s[24:25], s3, v1, v[2:3]
	v_cmp_gt_i64_e32 vcc, s[22:23], v[12:13]
	s_and_saveexec_b64 s[22:23], vcc
	s_cbranch_execz .LBB24_4
; %bb.1:
	s_lshr_b32 s2, s2, 16
	s_mul_i32 s7, s7, s2
	v_bfe_u32 v0, v0, 10, 10
	v_add_u32_e32 v8, s7, v0
	v_ashrrev_i32_e32 v9, 31, v8
	v_cmp_gt_i64_e32 vcc, s[20:21], v[8:9]
	s_and_b64 exec, exec, vcc
	s_cbranch_execz .LBB24_4
; %bb.2:
	s_load_dwordx4 s[4:7], s[4:5], 0x48
	v_lshlrev_b64 v[0:1], 1, v[12:13]
	v_cvt_f64_u32_e32 v[2:3], v1
	v_ldexp_f64 v[2:3], v[2:3], 32
	v_cvt_f64_u32_e32 v[0:1], v0
	v_add_f64 v[0:1], v[2:3], v[0:1]
	s_waitcnt lgkmcnt(0)
	v_add_f64 v[0:1], s[6:7], -v[0:1]
	s_mov_b32 s6, 0
	s_brev_b32 s7, 8
	v_cmp_gt_f64_e32 vcc, s[6:7], v[0:1]
	v_cndmask_b32_e64 v2, 0, 1, vcc
	v_lshlrev_b32_e32 v2, 8, v2
	v_ldexp_f64 v[2:3], v[0:1], v2
	v_rsq_f64_e32 v[0:1], v[2:3]
	s_load_dword s3, s[0:1], 0x4
	s_movk_i32 s0, 0xffe0
	v_lshlrev_b64 v[8:9], 3, v[8:9]
	v_mul_f64 v[4:5], v[2:3], v[0:1]
	v_mul_f64 v[0:1], v[0:1], 0.5
	v_fma_f64 v[6:7], -v[0:1], v[4:5], 0.5
	v_fmac_f64_e32 v[4:5], v[4:5], v[6:7]
	v_fma_f64 v[10:11], -v[4:5], v[4:5], v[2:3]
	v_fmac_f64_e32 v[0:1], v[0:1], v[6:7]
	v_fmac_f64_e32 v[4:5], v[10:11], v[0:1]
	v_fma_f64 v[6:7], -v[4:5], v[4:5], v[2:3]
	v_fmac_f64_e32 v[4:5], v[6:7], v[0:1]
	v_mov_b32_e32 v1, 0xffffff80
	v_cndmask_b32_e32 v1, 0, v1, vcc
	v_ldexp_f64 v[4:5], v[4:5], v1
	v_mov_b32_e32 v1, 0x260
	v_cmp_class_f64_e32 vcc, v[2:3], v1
	v_cndmask_b32_e32 v3, v5, v3, vcc
	v_cndmask_b32_e32 v2, v4, v2, vcc
	v_add_f64 v[2:3], s[4:5], -v[2:3]
	v_trunc_f64_e32 v[2:3], v[2:3]
	v_ldexp_f64 v[4:5], v[2:3], s0
	v_floor_f64_e32 v[4:5], v[4:5]
	v_fmac_f64_e32 v[2:3], 0xc1f00000, v[4:5]
	v_cvt_u32_f64_e32 v16, v[2:3]
	v_cvt_i32_f64_e32 v17, v[4:5]
	v_mul_lo_u32 v1, v13, s16
	v_mul_lo_u32 v4, v12, s17
	v_mad_u64_u32 v[2:3], s[0:1], v12, s16, 0
	v_add3_u32 v3, v3, v4, v1
	v_lshlrev_b64 v[2:3], 3, v[2:3]
	v_mov_b32_e32 v1, s11
	v_add_co_u32_e32 v2, vcc, s10, v2
	v_addc_co_u32_e32 v3, vcc, v1, v3, vcc
	v_lshlrev_b64 v[4:5], 3, v[12:13]
	v_mov_b32_e32 v1, s15
	v_add_co_u32_e32 v4, vcc, s14, v4
	v_addc_co_u32_e32 v5, vcc, v1, v5, vcc
	global_load_dwordx2 v[2:3], v[2:3], off
	v_mul_lo_u32 v1, v16, s21
	global_load_dwordx2 v[4:5], v[4:5], off
	v_mad_u64_u32 v[6:7], s[0:1], v16, s20, 0
	v_mul_lo_u32 v10, v17, s20
	v_add3_u32 v7, v7, v1, v10
	v_lshlrev_b64 v[6:7], 3, v[6:7]
	v_mov_b32_e32 v1, s13
	v_add_co_u32_e32 v14, vcc, s12, v6
	v_addc_co_u32_e32 v15, vcc, v1, v7, vcc
	s_lshl_b64 s[0:1], s[20:21], 3
	v_mov_b32_e32 v1, s1
	v_add_co_u32_e32 v6, vcc, s0, v14
	v_addc_co_u32_e32 v7, vcc, v15, v1, vcc
	v_add_co_u32_e32 v10, vcc, v14, v8
	v_addc_co_u32_e32 v11, vcc, v15, v9, vcc
	;; [unrolled: 2-line block ×3, first 2 shown]
	v_mul_lo_u32 v20, v22, v16
	v_mul_hi_u32 v18, v1, v16
	v_mul_lo_u32 v21, v1, v17
	v_mov_b32_e32 v0, 0
	v_add3_u32 v18, v18, v21, v20
	v_lshrrev_b32_e32 v18, 31, v18
	v_mov_b32_e32 v19, v0
	s_waitcnt lgkmcnt(0)
	s_mul_i32 s0, s3, s2
	v_mad_u64_u32 v[18:19], s[2:3], v1, v16, v[18:19]
	v_add3_u32 v19, v20, v19, v21
	v_mul_lo_u32 v23, v16, s19
	v_mad_u64_u32 v[20:21], s[2:3], v16, s18, 0
	v_mul_lo_u32 v24, v17, s18
	v_add3_u32 v21, v21, v23, v24
	v_sub_co_u32_e32 v12, vcc, v12, v20
	v_ashrrev_i64 v[18:19], 1, v[18:19]
	v_subb_co_u32_e32 v13, vcc, v13, v21, vcc
	v_add_co_u32_e32 v12, vcc, v18, v12
	v_addc_co_u32_e32 v13, vcc, v19, v13, vcc
	v_add_co_u32_e32 v18, vcc, v1, v12
	v_addc_co_u32_e32 v19, vcc, v22, v13, vcc
	v_mov_b32_e32 v1, s19
	v_sub_co_u32_e32 v20, vcc, s18, v16
	v_subb_co_u32_e32 v1, vcc, v1, v17, vcc
	v_add_co_u32_e32 v22, vcc, -2, v20
	v_addc_co_u32_e32 v1, vcc, -1, v1, vcc
	v_mad_u64_u32 v[20:21], s[2:3], v22, s18, v[18:19]
	v_mul_lo_u32 v22, v22, s19
	v_mul_lo_u32 v1, v1, s18
	v_add3_u32 v1, v1, v21, v22
	v_mul_lo_u32 v21, v12, s19
	v_mul_lo_u32 v22, v13, s18
	v_mad_u64_u32 v[12:13], s[2:3], v12, s18, v[16:17]
	v_add3_u32 v13, v22, v13, v21
	v_mul_lo_u32 v16, v13, s20
	v_mul_lo_u32 v17, v12, s21
	v_mad_u64_u32 v[12:13], s[2:3], v12, s20, 0
	v_add3_u32 v13, v13, v17, v16
	v_lshlrev_b64 v[12:13], 3, v[12:13]
	v_mov_b32_e32 v16, s9
	v_add_co_u32_e32 v12, vcc, s8, v12
	v_addc_co_u32_e32 v13, vcc, v16, v13, vcc
	v_mul_lo_u32 v19, v19, s20
	v_mul_lo_u32 v21, v18, s21
	v_mad_u64_u32 v[16:17], s[2:3], v18, s20, 0
	v_add3_u32 v17, v17, v21, v19
	v_lshlrev_b64 v[16:17], 3, v[16:17]
	v_mov_b32_e32 v18, s13
	v_add_co_u32_e32 v16, vcc, s12, v16
	v_addc_co_u32_e32 v17, vcc, v18, v17, vcc
	v_mul_lo_u32 v21, s21, v20
	v_mul_lo_u32 v1, s20, v1
	v_mad_u64_u32 v[18:19], s[2:3], s20, v20, 0
	v_add3_u32 v19, v19, v1, v21
	v_lshlrev_b64 v[18:19], 3, v[18:19]
	s_ashr_i32 s1, s0, 31
	v_mov_b32_e32 v1, s9
	v_add_co_u32_e32 v18, vcc, s8, v18
	v_addc_co_u32_e32 v19, vcc, v1, v19, vcc
	s_lshl_b64 s[2:3], s[0:1], 3
	s_mov_b64 s[4:5], 0
	v_mov_b32_e32 v20, 0x3ff00000
.LBB24_3:                               ; =>This Inner Loop Header: Depth=1
	v_add_co_u32_e32 v22, vcc, v16, v8
	v_addc_co_u32_e32 v23, vcc, v17, v9, vcc
	v_add_co_u32_e32 v24, vcc, v14, v8
	v_addc_co_u32_e32 v25, vcc, v15, v9, vcc
	global_load_dwordx2 v[26:27], v[24:25], off
	global_load_dwordx2 v[28:29], v[22:23], off
	v_add_co_u32_e32 v22, vcc, v18, v8
	v_addc_co_u32_e32 v23, vcc, v19, v9, vcc
	v_add_co_u32_e32 v24, vcc, v12, v8
	v_addc_co_u32_e32 v25, vcc, v13, v9, vcc
	v_mov_b32_e32 v1, s3
	v_add_co_u32_e32 v8, vcc, s2, v8
	v_add_co_u32_e64 v10, s[0:1], s2, v10
	v_addc_co_u32_e64 v11, s[0:1], v11, v1, s[0:1]
	v_addc_co_u32_e32 v9, vcc, v9, v1, vcc
	v_cmp_ge_u64_e32 vcc, v[10:11], v[6:7]
	s_or_b64 s[4:5], vcc, s[4:5]
	s_waitcnt vmcnt(0)
	v_add_f64 v[26:27], v[26:27], -v[28:29]
	v_cmp_lt_f64_e32 vcc, 0, v[26:27]
	v_cndmask_b32_e64 v21, 0, 1, vcc
	v_cmp_eq_f64_e64 vcc, |v[26:27]|, v[4:5]
	v_cndmask_b32_e32 v1, 0, v20, vcc
	v_cmp_gt_f64_e32 vcc, 0, v[26:27]
	v_subbrev_co_u32_e32 v21, vcc, 0, v21, vcc
	v_cvt_f64_i32_e32 v[26:27], v21
	v_mul_f64 v[26:27], v[2:3], v[26:27]
	v_mul_f64 v[26:27], v[26:27], v[0:1]
	global_store_dwordx2 v[24:25], v[26:27], off
	v_xor_b32_e32 v27, 0x80000000, v27
	global_store_dwordx2 v[22:23], v[26:27], off
	s_andn2_b64 exec, exec, s[4:5]
	s_cbranch_execnz .LBB24_3
.LBB24_4:
	s_endpgm
	.section	.rodata,"a",@progbits
	.p2align	6, 0x0
	.amdhsa_kernel _ZN2at6native12_GLOBAL__N_131pdist_backward_kernel_cuda_implIdNS1_5distsIdE3infEEEvPT_PKS6_S9_S9_llllS6_dd
		.amdhsa_group_segment_fixed_size 0
		.amdhsa_private_segment_fixed_size 0
		.amdhsa_kernarg_size 344
		.amdhsa_user_sgpr_count 6
		.amdhsa_user_sgpr_private_segment_buffer 1
		.amdhsa_user_sgpr_dispatch_ptr 0
		.amdhsa_user_sgpr_queue_ptr 0
		.amdhsa_user_sgpr_kernarg_segment_ptr 1
		.amdhsa_user_sgpr_dispatch_id 0
		.amdhsa_user_sgpr_flat_scratch_init 0
		.amdhsa_user_sgpr_kernarg_preload_length 0
		.amdhsa_user_sgpr_kernarg_preload_offset 0
		.amdhsa_user_sgpr_private_segment_size 0
		.amdhsa_uses_dynamic_stack 0
		.amdhsa_system_sgpr_private_segment_wavefront_offset 0
		.amdhsa_system_sgpr_workgroup_id_x 1
		.amdhsa_system_sgpr_workgroup_id_y 1
		.amdhsa_system_sgpr_workgroup_id_z 0
		.amdhsa_system_sgpr_workgroup_info 0
		.amdhsa_system_vgpr_workitem_id 1
		.amdhsa_next_free_vgpr 30
		.amdhsa_next_free_sgpr 26
		.amdhsa_accum_offset 32
		.amdhsa_reserve_vcc 1
		.amdhsa_reserve_flat_scratch 0
		.amdhsa_float_round_mode_32 0
		.amdhsa_float_round_mode_16_64 0
		.amdhsa_float_denorm_mode_32 3
		.amdhsa_float_denorm_mode_16_64 3
		.amdhsa_dx10_clamp 1
		.amdhsa_ieee_mode 1
		.amdhsa_fp16_overflow 0
		.amdhsa_tg_split 0
		.amdhsa_exception_fp_ieee_invalid_op 0
		.amdhsa_exception_fp_denorm_src 0
		.amdhsa_exception_fp_ieee_div_zero 0
		.amdhsa_exception_fp_ieee_overflow 0
		.amdhsa_exception_fp_ieee_underflow 0
		.amdhsa_exception_fp_ieee_inexact 0
		.amdhsa_exception_int_div_zero 0
	.end_amdhsa_kernel
	.section	.text._ZN2at6native12_GLOBAL__N_131pdist_backward_kernel_cuda_implIdNS1_5distsIdE3infEEEvPT_PKS6_S9_S9_llllS6_dd,"axG",@progbits,_ZN2at6native12_GLOBAL__N_131pdist_backward_kernel_cuda_implIdNS1_5distsIdE3infEEEvPT_PKS6_S9_S9_llllS6_dd,comdat
.Lfunc_end24:
	.size	_ZN2at6native12_GLOBAL__N_131pdist_backward_kernel_cuda_implIdNS1_5distsIdE3infEEEvPT_PKS6_S9_S9_llllS6_dd, .Lfunc_end24-_ZN2at6native12_GLOBAL__N_131pdist_backward_kernel_cuda_implIdNS1_5distsIdE3infEEEvPT_PKS6_S9_S9_llllS6_dd
                                        ; -- End function
	.section	.AMDGPU.csdata,"",@progbits
; Kernel info:
; codeLenInByte = 1104
; NumSgprs: 30
; NumVgprs: 30
; NumAgprs: 0
; TotalNumVgprs: 30
; ScratchSize: 0
; MemoryBound: 0
; FloatMode: 240
; IeeeMode: 1
; LDSByteSize: 0 bytes/workgroup (compile time only)
; SGPRBlocks: 3
; VGPRBlocks: 3
; NumSGPRsForWavesPerEU: 30
; NumVGPRsForWavesPerEU: 30
; AccumOffset: 32
; Occupancy: 8
; WaveLimiterHint : 0
; COMPUTE_PGM_RSRC2:SCRATCH_EN: 0
; COMPUTE_PGM_RSRC2:USER_SGPR: 6
; COMPUTE_PGM_RSRC2:TRAP_HANDLER: 0
; COMPUTE_PGM_RSRC2:TGID_X_EN: 1
; COMPUTE_PGM_RSRC2:TGID_Y_EN: 1
; COMPUTE_PGM_RSRC2:TGID_Z_EN: 0
; COMPUTE_PGM_RSRC2:TIDIG_COMP_CNT: 1
; COMPUTE_PGM_RSRC3_GFX90A:ACCUM_OFFSET: 7
; COMPUTE_PGM_RSRC3_GFX90A:TG_SPLIT: 0
	.section	.text._ZN2at6native12_GLOBAL__N_131pdist_backward_kernel_cuda_implIfNS1_5distsIfE1pEEEvPT_PKS6_S9_S9_llllS6_dd,"axG",@progbits,_ZN2at6native12_GLOBAL__N_131pdist_backward_kernel_cuda_implIfNS1_5distsIfE1pEEEvPT_PKS6_S9_S9_llllS6_dd,comdat
	.globl	_ZN2at6native12_GLOBAL__N_131pdist_backward_kernel_cuda_implIfNS1_5distsIfE1pEEEvPT_PKS6_S9_S9_llllS6_dd ; -- Begin function _ZN2at6native12_GLOBAL__N_131pdist_backward_kernel_cuda_implIfNS1_5distsIfE1pEEEvPT_PKS6_S9_S9_llllS6_dd
	.p2align	8
	.type	_ZN2at6native12_GLOBAL__N_131pdist_backward_kernel_cuda_implIfNS1_5distsIfE1pEEEvPT_PKS6_S9_S9_llllS6_dd,@function
_ZN2at6native12_GLOBAL__N_131pdist_backward_kernel_cuda_implIfNS1_5distsIfE1pEEEvPT_PKS6_S9_S9_llllS6_dd: ; @_ZN2at6native12_GLOBAL__N_131pdist_backward_kernel_cuda_implIfNS1_5distsIfE1pEEEvPT_PKS6_S9_S9_llllS6_dd
; %bb.0:
	s_load_dwordx16 s[8:23], s[4:5], 0x0
	s_load_dword s0, s[4:5], 0x64
	s_add_u32 s24, s4, 0x58
	s_addc_u32 s25, s5, 0
	v_and_b32_e32 v2, 0x3ff, v0
	v_mov_b32_e32 v3, 0
	s_waitcnt lgkmcnt(0)
	s_and_b32 s1, s0, 0xffff
	v_mov_b32_e32 v1, s6
	v_mad_u64_u32 v[6:7], s[2:3], s1, v1, v[2:3]
	v_cmp_gt_i64_e32 vcc, s[22:23], v[6:7]
	s_and_saveexec_b64 s[2:3], vcc
	s_cbranch_execz .LBB25_6
; %bb.1:
	s_lshr_b32 s6, s0, 16
	s_mul_i32 s7, s7, s6
	v_bfe_u32 v0, v0, 10, 10
	v_add_u32_e32 v2, s7, v0
	v_ashrrev_i32_e32 v3, 31, v2
	v_cmp_gt_i64_e32 vcc, s[20:21], v[2:3]
	s_and_b64 exec, exec, vcc
	s_cbranch_execz .LBB25_6
; %bb.2:
	s_load_dwordx4 s[0:3], s[4:5], 0x48
	v_lshlrev_b64 v[0:1], 1, v[6:7]
	v_cvt_f64_u32_e32 v[4:5], v1
	v_ldexp_f64 v[4:5], v[4:5], 32
	v_cvt_f64_u32_e32 v[0:1], v0
	v_add_f64 v[0:1], v[4:5], v[0:1]
	s_waitcnt lgkmcnt(0)
	v_add_f64 v[0:1], s[2:3], -v[0:1]
	s_mov_b32 s2, 0
	s_brev_b32 s3, 8
	v_cmp_gt_f64_e32 vcc, s[2:3], v[0:1]
	v_cndmask_b32_e64 v4, 0, 1, vcc
	v_lshlrev_b32_e32 v4, 8, v4
	v_ldexp_f64 v[0:1], v[0:1], v4
	v_rsq_f64_e32 v[4:5], v[0:1]
	s_load_dword s2, s[4:5], 0x40
	s_load_dword s3, s[24:25], 0x4
	v_lshlrev_b64 v[2:3], 2, v[2:3]
	s_movk_i32 s22, 0x204
	v_mul_f64 v[8:9], v[0:1], v[4:5]
	v_mul_f64 v[4:5], v[4:5], 0.5
	v_fma_f64 v[10:11], -v[4:5], v[8:9], 0.5
	v_fmac_f64_e32 v[8:9], v[8:9], v[10:11]
	v_fma_f64 v[12:13], -v[8:9], v[8:9], v[0:1]
	v_fmac_f64_e32 v[4:5], v[4:5], v[10:11]
	v_fmac_f64_e32 v[8:9], v[12:13], v[4:5]
	v_fma_f64 v[10:11], -v[8:9], v[8:9], v[0:1]
	v_fmac_f64_e32 v[8:9], v[10:11], v[4:5]
	v_mov_b32_e32 v4, 0xffffff80
	v_cndmask_b32_e32 v4, 0, v4, vcc
	v_ldexp_f64 v[4:5], v[8:9], v4
	v_mov_b32_e32 v8, 0x260
	v_cmp_class_f64_e32 vcc, v[0:1], v8
	v_cndmask_b32_e32 v1, v5, v1, vcc
	v_cndmask_b32_e32 v0, v4, v0, vcc
	v_add_f64 v[0:1], s[0:1], -v[0:1]
	v_trunc_f64_e32 v[0:1], v[0:1]
	s_movk_i32 s0, 0xffe0
	v_ldexp_f64 v[4:5], v[0:1], s0
	v_floor_f64_e32 v[4:5], v[4:5]
	v_fmac_f64_e32 v[0:1], 0xc1f00000, v[4:5]
	v_cvt_u32_f64_e32 v8, v[0:1]
	v_cvt_i32_f64_e32 v9, v[4:5]
	v_mul_lo_u32 v4, v7, s16
	v_mul_lo_u32 v5, v6, s17
	v_mad_u64_u32 v[0:1], s[0:1], v6, s16, 0
	v_add3_u32 v1, v1, v5, v4
	v_lshlrev_b64 v[0:1], 2, v[0:1]
	v_mov_b32_e32 v4, s11
	v_add_co_u32_e32 v0, vcc, s10, v0
	v_addc_co_u32_e32 v1, vcc, v4, v1, vcc
	global_load_dword v12, v[0:1], off
	v_mul_lo_u32 v4, v8, s21
	v_mad_u64_u32 v[0:1], s[0:1], v8, s20, 0
	v_mul_lo_u32 v5, v9, s20
	v_add3_u32 v1, v1, v4, v5
	v_lshlrev_b64 v[0:1], 2, v[0:1]
	v_mov_b32_e32 v4, s13
	v_add_co_u32_e32 v13, vcc, s12, v0
	v_addc_co_u32_e32 v14, vcc, v4, v1, vcc
	v_lshlrev_b64 v[0:1], 2, v[6:7]
	v_mov_b32_e32 v5, s15
	v_add_co_u32_e32 v0, vcc, s14, v0
	v_addc_co_u32_e32 v1, vcc, v5, v1, vcc
	global_load_dword v18, v[0:1], off
	s_lshl_b64 s[0:1], s[20:21], 2
	v_mov_b32_e32 v4, s1
	v_add_co_u32_e32 v0, vcc, s0, v13
	v_addc_co_u32_e32 v1, vcc, v14, v4, vcc
	v_add_co_u32_e32 v4, vcc, v13, v2
	v_addc_co_u32_e32 v5, vcc, v14, v3, vcc
	;; [unrolled: 2-line block ×3, first 2 shown]
	v_mul_lo_u32 v16, v19, v8
	v_mul_hi_u32 v10, v15, v8
	v_mul_lo_u32 v17, v15, v9
	v_add3_u32 v10, v10, v17, v16
	v_mov_b32_e32 v11, 0
	v_lshrrev_b32_e32 v10, 31, v10
	v_mad_u64_u32 v[10:11], s[0:1], v15, v8, v[10:11]
	v_add3_u32 v11, v16, v11, v17
	v_mul_lo_u32 v20, v8, s19
	v_mad_u64_u32 v[16:17], s[0:1], v8, s18, 0
	v_mul_lo_u32 v21, v9, s18
	v_add3_u32 v17, v17, v20, v21
	v_sub_co_u32_e32 v6, vcc, v6, v16
	v_ashrrev_i64 v[10:11], 1, v[10:11]
	v_subb_co_u32_e32 v7, vcc, v7, v17, vcc
	v_add_co_u32_e32 v16, vcc, v10, v6
	v_addc_co_u32_e32 v17, vcc, v11, v7, vcc
	v_add_co_u32_e32 v10, vcc, v15, v16
	v_addc_co_u32_e32 v11, vcc, v19, v17, vcc
	v_mov_b32_e32 v6, s19
	v_sub_co_u32_e32 v7, vcc, s18, v8
	v_subb_co_u32_e32 v6, vcc, v6, v9, vcc
	v_add_co_u32_e32 v15, vcc, -2, v7
	v_addc_co_u32_e32 v19, vcc, -1, v6, vcc
	v_mad_u64_u32 v[6:7], s[0:1], v15, s18, v[10:11]
	v_mul_lo_u32 v15, v15, s19
	v_mul_lo_u32 v19, v19, s18
	v_add3_u32 v20, v19, v7, v15
	v_mul_lo_u32 v7, v16, s19
	v_mul_lo_u32 v15, v17, s18
	v_mad_u64_u32 v[8:9], s[0:1], v16, s18, v[8:9]
	v_add3_u32 v7, v15, v9, v7
	v_mul_lo_u32 v7, v7, s20
	v_mul_lo_u32 v15, v8, s21
	v_mad_u64_u32 v[8:9], s[0:1], v8, s20, 0
	v_add3_u32 v9, v9, v15, v7
	v_lshlrev_b64 v[8:9], 2, v[8:9]
	v_mov_b32_e32 v15, s9
	v_add_co_u32_e32 v7, vcc, s8, v8
	v_addc_co_u32_e32 v8, vcc, v15, v9, vcc
	v_mul_lo_u32 v9, v11, s20
	v_mul_lo_u32 v15, v10, s21
	v_mad_u64_u32 v[10:11], s[0:1], v10, s20, 0
	v_add3_u32 v11, v11, v15, v9
	v_lshlrev_b64 v[10:11], 2, v[10:11]
	v_mov_b32_e32 v15, s13
	v_add_co_u32_e32 v9, vcc, s12, v10
	v_addc_co_u32_e32 v10, vcc, v15, v11, vcc
	s_waitcnt lgkmcnt(0)
	v_add_f32_e64 v21, s2, -1.0
	s_waitcnt vmcnt(0)
	v_cmp_eq_f32_e32 vcc, 1.0, v18
	v_cndmask_b32_e64 v36, v21, 1.0, vcc
	s_mul_i32 s6, s3, s6
	v_add_f32_e64 v11, s2, -2.0
	v_cmp_eq_f32_e64 s[2:3], 0, v36
	v_cndmask_b32_e64 v37, |v18|, 1.0, s[2:3]
	v_frexp_mant_f32_e32 v15, v37
	s_mov_b32 s18, 0x3f2aaaab
	v_cmp_gt_f32_e64 s[4:5], s18, v15
	v_cndmask_b32_e64 v16, 1.0, 2.0, s[4:5]
	v_mul_f32_e32 v15, v15, v16
	v_add_f32_e32 v16, 1.0, v15
	v_rcp_f32_e32 v19, v16
	v_add_f32_e32 v17, -1.0, v16
	v_sub_f32_e32 v23, v15, v17
	v_add_f32_e32 v17, -1.0, v15
	v_mul_f32_e32 v15, v17, v19
	v_mul_f32_e32 v22, v16, v15
	v_fma_f32 v24, v15, v16, -v22
	v_fmac_f32_e32 v24, v15, v23
	v_add_f32_e32 v16, v22, v24
	v_sub_f32_e32 v23, v17, v16
	v_pk_add_f32 v[26:27], v[16:17], v[22:23] neg_lo:[0,1] neg_hi:[0,1]
	v_mov_b32_e32 v25, v16
	v_pk_add_f32 v[16:17], v[26:27], v[24:25] neg_lo:[0,1] neg_hi:[0,1]
	v_add_f32_e32 v16, v16, v17
	v_add_f32_e32 v16, v23, v16
	v_mul_f32_e32 v17, v19, v16
	v_add_f32_e32 v16, v15, v17
	v_sub_f32_e32 v15, v16, v15
	v_sub_f32_e32 v19, v17, v15
	v_mul_f32_e32 v17, v16, v16
	v_fma_f32 v23, v16, v16, -v17
	v_add_f32_e32 v15, v19, v19
	v_fmac_f32_e32 v23, v16, v15
	v_add_f32_e32 v22, v17, v23
	v_mov_b32_e32 v24, 0x3e91f4c4
	v_fmac_f32_e32 v24, 0x3e76c4e1, v22
	v_mov_b32_e32 v15, 0x3ecccdef
	v_fma_f32 v24, v22, v24, v15
	v_sub_f32_e32 v17, v22, v17
	v_sub_f32_e32 v30, v23, v17
	v_mul_f32_e32 v17, v22, v24
	v_fma_f32 v23, v22, v24, -v17
	v_fmac_f32_e32 v23, v30, v24
	v_add_f32_e32 v24, v17, v23
	v_add_f32_e32 v25, 0x3f2aaaaa, v24
	v_sub_f32_e32 v17, v24, v17
	v_sub_f32_e32 v17, v23, v17
	v_add_f32_e32 v23, 0xbf2aaaaa, v25
	v_add_f32_e32 v17, 0x31739010, v17
	v_sub_f32_e32 v23, v24, v23
	v_pk_mul_f32 v[26:27], v[16:17], v[22:23]
	v_fma_f32 v24, v22, v16, -v26
	v_pk_add_f32 v[28:29], v[16:17], v[22:23]
	v_fmac_f32_e32 v24, v22, v19
	v_mov_b32_e32 v27, v29
	v_fmac_f32_e32 v24, v30, v16
	v_pk_add_f32 v[22:23], v[26:27], v[24:25]
	v_sub_f32_e32 v17, v22, v26
	v_sub_f32_e32 v17, v24, v17
	;; [unrolled: 1-line block ×3, first 2 shown]
	v_add_f32_e32 v27, v29, v24
	v_mov_b32_e32 v24, v23
	v_pk_mul_f32 v[24:25], v[22:23], v[24:25]
	v_cvt_f64_f32_e32 v[28:29], v37
	v_frexp_exp_i32_f64_e32 v25, v[28:29]
	v_subbrev_co_u32_e64 v25, s[4:5], 0, v25, s[4:5]
	v_cvt_f32_i32_e32 v25, v25
	v_fma_f32 v26, v22, v23, -v24
	v_fmac_f32_e32 v26, v22, v27
	s_mov_b32 s19, 0x3f317218
	v_mul_f32_e32 v22, 0x3f317218, v25
	v_fmac_f32_e32 v26, v17, v23
	v_fma_f32 v28, v25, s19, -v22
	v_fmac_f32_e32 v28, 0xb102e308, v25
	v_ldexp_f32 v29, v16, 1
	v_add_f32_e32 v23, v24, v26
	v_pk_add_f32 v[16:17], v[22:23], v[28:29]
	v_mov_b32_e32 v30, v23
	v_mov_b32_e32 v31, v17
	;; [unrolled: 1-line block ×3, first 2 shown]
	v_pk_add_f32 v[24:25], v[30:31], v[24:25] neg_lo:[0,1] neg_hi:[0,1]
	v_mov_b32_e32 v27, v23
	v_ldexp_f32 v19, v19, 1
	v_pk_add_f32 v[24:25], v[26:27], v[24:25] neg_lo:[0,1] neg_hi:[0,1]
	v_add_f32_e32 v19, v19, v24
	v_add_f32_e32 v23, v19, v25
	v_pk_add_f32 v[24:25], v[16:17], v[22:23] neg_lo:[0,1] neg_hi:[0,1]
	v_pk_add_f32 v[26:27], v[16:17], v[22:23]
	v_mov_b32_e32 v30, v24
	v_mov_b32_e32 v31, v27
	v_mov_b32_e32 v29, v16
	v_pk_add_f32 v[30:31], v[28:29], v[30:31]
	v_mov_b32_e32 v22, v31
	v_pk_add_f32 v[32:33], v[22:23], v[16:17] neg_lo:[0,1] neg_hi:[0,1]
	v_mov_b32_e32 v19, v32
	v_mov_b32_e32 v30, v27
	;; [unrolled: 1-line block ×4, first 2 shown]
	v_pk_add_f32 v[24:25], v[28:29], v[24:25] neg_lo:[0,1] neg_hi:[0,1]
	v_pk_add_f32 v[34:35], v[26:27], v[18:19] neg_lo:[0,1] neg_hi:[0,1]
	;; [unrolled: 1-line block ×3, first 2 shown]
	v_mov_b32_e32 v28, v23
	v_pk_add_f32 v[16:17], v[28:29], v[16:17] neg_lo:[0,1] neg_hi:[0,1]
	v_mov_b32_e32 v34, v24
	v_pk_add_f32 v[26:27], v[34:35], v[16:17]
	v_mov_b32_e32 v28, v27
	v_pk_add_f32 v[28:29], v[26:27], v[28:29]
	v_pk_add_f32 v[22:23], v[22:23], v[28:29]
	v_mov_b32_e32 v25, v31
	v_mov_b32_e32 v27, v22
	v_pk_add_f32 v[30:31], v[26:27], v[24:25] neg_lo:[0,1] neg_hi:[0,1]
	v_mov_b32_e32 v17, v28
	v_sub_f32_e32 v19, v26, v30
	v_pk_add_f32 v[16:17], v[16:17], v[30:31] neg_lo:[0,1] neg_hi:[0,1]
	v_sub_f32_e32 v19, v24, v19
	v_add_f32_e32 v16, v16, v19
	v_add_f32_e32 v16, v16, v17
	;; [unrolled: 1-line block ×3, first 2 shown]
	v_sub_f32_e32 v19, v17, v22
	v_sub_f32_e32 v16, v16, v19
	v_mul_f32_e32 v19, v36, v17
	v_fma_f32 v17, v36, v17, -v19
	v_fmac_f32_e32 v17, v36, v16
	v_add_f32_e32 v16, v19, v17
	v_cmp_class_f32_e64 s[4:5], v19, s22
	v_sub_f32_e32 v22, v16, v19
	v_cndmask_b32_e64 v19, v16, v19, s[4:5]
	s_mov_b32 s24, 0x42b17218
	v_mov_b32_e32 v16, 0x37000000
	v_cmp_eq_f32_e64 s[4:5], s24, v19
	v_sub_f32_e32 v17, v17, v22
	v_cndmask_b32_e64 v22, 0, v16, s[4:5]
	v_sub_f32_e32 v23, v19, v22
	s_mov_b32 s25, 0x3fb8aa3b
	v_mul_f32_e32 v24, 0x3fb8aa3b, v23
	v_fma_f32 v25, v23, s25, -v24
	v_rndne_f32_e32 v26, v24
	v_fmac_f32_e32 v25, 0x32a5705f, v23
	v_sub_f32_e32 v24, v24, v26
	v_add_f32_e32 v24, v24, v25
	v_exp_f32_e32 v24, v24
	v_cvt_i32_f32_e32 v25, v26
	s_mov_b32 s23, 0x7f800000
	v_cmp_neq_f32_e64 s[4:5], |v19|, s23
	v_cndmask_b32_e64 v17, 0, v17, s[4:5]
	s_mov_b32 s26, 0xc2ce8ed0
	v_add_f32_e32 v19, v22, v17
	v_ldexp_f32 v17, v24, v25
	v_cmp_ngt_f32_e64 s[4:5], s26, v23
	v_cndmask_b32_e64 v22, 0, v17, s[4:5]
	v_mov_b32_e32 v17, 0x7f800000
	v_cmp_nlt_f32_e64 s[4:5], s24, v23
	v_cndmask_b32_e64 v22, v17, v22, s[4:5]
	v_fma_f32 v19, v22, v19, v22
	v_cmp_class_f32_e64 s[4:5], v22, s22
	v_trunc_f32_e32 v23, v36
	v_cndmask_b32_e64 v19, v19, v22, s[4:5]
	v_cndmask_b32_e64 v22, v18, 1.0, s[2:3]
	v_cmp_eq_f32_e64 s[2:3], v23, v36
	v_mul_f32_e32 v23, 0.5, v36
	v_trunc_f32_e32 v24, v23
	v_cmp_neq_f32_e64 s[4:5], v24, v23
	s_and_b64 s[4:5], s[2:3], s[4:5]
	v_cndmask_b32_e64 v23, 1.0, v22, s[4:5]
	s_brev_b32 s7, -2
	v_cmp_neq_f32_e64 s[0:1], 0, v18
	v_mov_b32_e32 v18, 0x7fc00000
	v_bfi_b32 v19, s7, v19, v23
	v_cndmask_b32_e64 v23, v18, v19, s[2:3]
	v_cmp_gt_f32_e64 s[2:3], 0, v22
	v_cndmask_b32_e64 v21, |v21|, 1.0, vcc
	v_cndmask_b32_e64 v19, v19, v23, s[2:3]
	v_cmp_neq_f32_e32 vcc, v36, v21
	v_cmp_gt_f32_e64 s[2:3], 1.0, v37
	s_xor_b64 s[2:3], vcc, s[2:3]
	v_cndmask_b32_e64 v23, v21, 0, s[2:3]
	v_cmp_eq_f32_e32 vcc, 1.0, v37
	v_cndmask_b32_e32 v23, v23, v37, vcc
	v_cmp_eq_f32_e32 vcc, s23, v21
	v_cndmask_b32_e32 v19, v19, v23, vcc
	v_cmp_gt_f32_e32 vcc, 0, v36
	v_cndmask_b32_e64 v21, v17, 0, vcc
	v_cndmask_b32_e64 v23, 0, v22, s[4:5]
	v_bfi_b32 v21, s7, v21, v23
	v_cmp_eq_f32_e32 vcc, s23, v37
	v_cndmask_b32_e32 v19, v19, v21, vcc
	v_cmp_o_f32_e32 vcc, v22, v36
	v_mul_lo_u32 v22, s21, v6
	v_mul_lo_u32 v23, s20, v20
	v_mad_u64_u32 v[20:21], s[2:3], s20, v6, 0
	v_add3_u32 v21, v21, v23, v22
	v_lshlrev_b64 v[20:21], 2, v[20:21]
	v_cndmask_b32_e32 v19, v18, v19, vcc
	s_ashr_i32 s7, s6, 31
	v_mov_b32_e32 v22, s9
	v_add_co_u32_e32 v6, vcc, s8, v20
	v_addc_co_u32_e32 v20, vcc, v22, v21, vcc
	s_lshl_b64 s[12:13], s[6:7], 2
	s_mov_b64 s[14:15], 0
	s_branch .LBB25_4
.LBB25_3:                               ;   in Loop: Header=BB25_4 Depth=1
	s_or_b64 exec, exec, s[16:17]
	v_add_co_u32_e32 v22, vcc, v6, v2
	v_addc_co_u32_e32 v23, vcc, v20, v3, vcc
	v_add_co_u32_e32 v24, vcc, v7, v2
	v_addc_co_u32_e32 v25, vcc, v8, v3, vcc
	global_store_dword v[24:25], v21, off
	v_xor_b32_e32 v21, 0x80000000, v21
	global_store_dword v[22:23], v21, off
	v_mov_b32_e32 v21, s13
	v_add_co_u32_e32 v4, vcc, s12, v4
	v_addc_co_u32_e32 v5, vcc, v5, v21, vcc
	v_cmp_ge_u64_e32 vcc, v[4:5], v[0:1]
	s_or_b64 s[14:15], vcc, s[14:15]
	v_add_co_u32_e32 v2, vcc, s12, v2
	v_addc_co_u32_e32 v3, vcc, v3, v21, vcc
	s_andn2_b64 exec, exec, s[14:15]
	s_cbranch_execz .LBB25_6
.LBB25_4:                               ; =>This Inner Loop Header: Depth=1
	v_mov_b32_e32 v21, 0
	s_and_saveexec_b64 s[16:17], s[0:1]
	s_cbranch_execz .LBB25_3
; %bb.5:                                ;   in Loop: Header=BB25_4 Depth=1
	v_add_co_u32_e32 v22, vcc, v9, v2
	v_addc_co_u32_e32 v23, vcc, v10, v3, vcc
	v_add_co_u32_e32 v24, vcc, v13, v2
	v_addc_co_u32_e32 v25, vcc, v14, v3, vcc
	global_load_dword v21, v[24:25], off
	global_load_dword v26, v[22:23], off
	v_mov_b32_e32 v27, 0x3e91f4c4
	s_waitcnt vmcnt(0)
	v_sub_f32_e32 v21, v21, v26
	v_cmp_eq_f32_e64 s[2:3], |v21|, 1.0
	v_cndmask_b32_e64 v22, v11, 1.0, s[2:3]
	v_cmp_neq_f32_e32 vcc, 0, v22
	v_cndmask_b32_e64 v23, 1.0, |v21|, vcc
	v_frexp_mant_f32_e32 v26, v23
	v_cmp_gt_f32_e64 s[10:11], s18, v26
	v_cndmask_b32_e64 v28, 1.0, 2.0, s[10:11]
	v_mul_f32_e32 v26, v26, v28
	v_cndmask_b32_e64 v38, |v11|, 1.0, s[2:3]
	v_cmp_gt_f32_e64 s[4:5], 0, v22
	v_cvt_f64_f32_e32 v[24:25], v23
	v_cmp_eq_f32_e64 s[2:3], 0, v23
	v_add_f32_e32 v29, 1.0, v26
	v_cmp_neq_f32_e64 s[6:7], v22, v38
	v_cmp_gt_f32_e64 s[8:9], 1.0, v23
	v_frexp_exp_i32_f64_e32 v24, v[24:25]
	s_xor_b64 s[4:5], s[4:5], s[2:3]
	v_rcp_f32_e32 v34, v29
	s_xor_b64 s[6:7], s[6:7], s[8:9]
	v_cndmask_b32_e64 v39, v17, 0, s[4:5]
	v_subbrev_co_u32_e64 v24, s[4:5], 0, v24, s[10:11]
	v_cndmask_b32_e64 v25, v38, 0, s[6:7]
	v_cmp_eq_f32_e64 s[4:5], 1.0, v23
	v_cvt_f32_i32_e32 v24, v24
	v_cndmask_b32_e64 v40, v25, v23, s[4:5]
	v_add_f32_e32 v25, -1.0, v26
	v_mul_f32_e32 v35, v25, v34
	v_add_f32_e32 v28, -1.0, v29
	v_mul_f32_e32 v30, v29, v35
	v_sub_f32_e32 v31, v26, v28
	v_mul_f32_e32 v26, 0x3f317218, v24
	v_fma_f32 v32, v35, v29, -v30
	v_fma_f32 v28, v24, s19, -v26
	v_fmac_f32_e32 v32, v35, v31
	v_fmac_f32_e32 v28, 0xb102e308, v24
	v_add_f32_e32 v24, v30, v32
	v_sub_f32_e32 v31, v25, v24
	v_mov_b32_e32 v33, v24
	v_pk_add_f32 v[24:25], v[24:25], v[30:31] neg_lo:[0,1] neg_hi:[0,1]
	v_pk_add_f32 v[24:25], v[24:25], v[32:33] neg_lo:[0,1] neg_hi:[0,1]
	v_add_f32_e32 v24, v24, v25
	v_add_f32_e32 v24, v31, v24
	v_mul_f32_e32 v25, v34, v24
	v_add_f32_e32 v24, v35, v25
	v_sub_f32_e32 v30, v24, v35
	v_mul_f32_e32 v31, v24, v24
	v_sub_f32_e32 v41, v25, v30
	v_fma_f32 v25, v24, v24, -v31
	v_add_f32_e32 v30, v41, v41
	v_fmac_f32_e32 v25, v24, v30
	v_add_f32_e32 v30, v31, v25
	v_fmac_f32_e32 v27, 0x3e76c4e1, v30
	v_sub_f32_e32 v31, v30, v31
	v_fma_f32 v27, v30, v27, v15
	v_sub_f32_e32 v43, v25, v31
	v_mul_f32_e32 v25, v30, v27
	v_fma_f32 v31, v30, v27, -v25
	v_fmac_f32_e32 v31, v43, v27
	v_add_f32_e32 v27, v25, v31
	v_add_f32_e32 v33, 0x3f2aaaaa, v27
	v_sub_f32_e32 v25, v27, v25
	v_sub_f32_e32 v25, v31, v25
	v_add_f32_e32 v31, 0xbf2aaaaa, v33
	v_add_f32_e32 v25, 0x31739010, v25
	v_sub_f32_e32 v31, v27, v31
	v_pk_mul_f32 v[34:35], v[24:25], v[30:31]
	v_fma_f32 v32, v30, v24, -v34
	v_pk_add_f32 v[36:37], v[24:25], v[30:31]
	v_fmac_f32_e32 v32, v30, v41
	v_mov_b32_e32 v35, v37
	v_fmac_f32_e32 v32, v43, v24
	v_ldexp_f32 v29, v24, 1
	v_pk_add_f32 v[24:25], v[34:35], v[32:33]
	v_sub_f32_e32 v31, v33, v25
	v_mov_b32_e32 v30, v25
	v_sub_f32_e32 v27, v24, v34
	v_add_f32_e32 v33, v37, v31
	v_pk_mul_f32 v[30:31], v[24:25], v[30:31]
	v_sub_f32_e32 v27, v32, v27
	v_fma_f32 v32, v24, v25, -v30
	v_fmac_f32_e32 v32, v24, v33
	v_fmac_f32_e32 v32, v27, v25
	v_add_f32_e32 v27, v30, v32
	v_pk_add_f32 v[24:25], v[26:27], v[28:29]
	v_mov_b32_e32 v31, v29
	v_mov_b32_e32 v34, v27
	;; [unrolled: 1-line block ×4, first 2 shown]
	v_pk_add_f32 v[30:31], v[34:35], v[30:31] neg_lo:[0,1] neg_hi:[0,1]
	v_ldexp_f32 v42, v41, 1
	v_pk_add_f32 v[30:31], v[32:33], v[30:31] neg_lo:[0,1] neg_hi:[0,1]
	v_add_f32_e32 v27, v42, v30
	v_add_f32_e32 v27, v27, v31
	v_pk_add_f32 v[30:31], v[24:25], v[26:27] neg_lo:[0,1] neg_hi:[0,1]
	v_pk_add_f32 v[32:33], v[24:25], v[26:27]
	v_mov_b32_e32 v29, v24
	v_mov_b32_e32 v34, v30
	;; [unrolled: 1-line block ×3, first 2 shown]
	v_pk_add_f32 v[34:35], v[28:29], v[34:35]
	v_mov_b32_e32 v26, v35
	v_mov_b32_e32 v36, v25
	v_pk_add_f32 v[24:25], v[26:27], v[24:25] neg_lo:[0,1] neg_hi:[0,1]
	v_mov_b32_e32 v34, v33
	v_mov_b32_e32 v25, v24
	;; [unrolled: 1-line block ×3, first 2 shown]
	v_pk_add_f32 v[30:31], v[28:29], v[30:31] neg_lo:[0,1] neg_hi:[0,1]
	v_mov_b32_e32 v28, v27
	v_pk_add_f32 v[24:25], v[32:33], v[24:25] neg_lo:[0,1] neg_hi:[0,1]
	v_pk_add_f32 v[32:33], v[34:35], v[36:37] neg_lo:[0,1] neg_hi:[0,1]
	v_pk_add_f32 v[28:29], v[28:29], v[32:33] neg_lo:[0,1] neg_hi:[0,1]
	v_mov_b32_e32 v24, v30
	v_pk_add_f32 v[24:25], v[24:25], v[28:29]
	v_mov_b32_e32 v32, v25
	v_pk_add_f32 v[32:33], v[24:25], v[32:33]
	v_pk_add_f32 v[26:27], v[26:27], v[32:33]
	v_mov_b32_e32 v31, v35
	v_mov_b32_e32 v25, v26
	;; [unrolled: 1-line block ×3, first 2 shown]
	v_pk_add_f32 v[32:33], v[24:25], v[30:31] neg_lo:[0,1] neg_hi:[0,1]
	v_sub_f32_e32 v24, v24, v32
	v_pk_add_f32 v[28:29], v[28:29], v[32:33] neg_lo:[0,1] neg_hi:[0,1]
	v_sub_f32_e32 v24, v30, v24
	v_add_f32_e32 v24, v28, v24
	v_add_f32_e32 v24, v24, v29
	;; [unrolled: 1-line block ×3, first 2 shown]
	v_sub_f32_e32 v26, v25, v26
	v_mul_f32_e32 v27, v22, v25
	v_sub_f32_e32 v24, v24, v26
	v_fma_f32 v25, v22, v25, -v27
	v_fmac_f32_e32 v25, v22, v24
	v_add_f32_e32 v24, v27, v25
	v_cmp_class_f32_e64 s[4:5], v27, s22
	v_sub_f32_e32 v26, v24, v27
	v_cndmask_b32_e64 v24, v24, v27, s[4:5]
	v_cmp_eq_f32_e64 s[4:5], s24, v24
	v_sub_f32_e32 v25, v25, v26
	v_cndmask_b32_e64 v26, 0, v16, s[4:5]
	v_sub_f32_e32 v27, v24, v26
	v_mul_f32_e32 v28, 0x3fb8aa3b, v27
	v_fma_f32 v29, v27, s25, -v28
	v_rndne_f32_e32 v30, v28
	v_fmac_f32_e32 v29, 0x32a5705f, v27
	v_sub_f32_e32 v28, v28, v30
	v_add_f32_e32 v28, v28, v29
	v_cvt_i32_f32_e32 v30, v30
	v_exp_f32_e32 v28, v28
	v_cmp_neq_f32_e64 s[4:5], |v24|, s23
	v_cndmask_b32_e64 v24, 0, v25, s[4:5]
	v_cmp_ngt_f32_e64 s[4:5], s26, v27
	v_ldexp_f32 v25, v28, v30
	v_cndmask_b32_e64 v25, 0, v25, s[4:5]
	v_cmp_nlt_f32_e64 s[4:5], s24, v27
	v_add_f32_e32 v24, v26, v24
	v_cndmask_b32_e64 v25, v17, v25, s[4:5]
	v_fma_f32 v24, v25, v24, v25
	v_cmp_class_f32_e64 s[4:5], v25, s22
	v_cmp_eq_f32_e32 vcc, s23, v23
	v_cndmask_b32_e64 v24, v24, v25, s[4:5]
	v_cmp_eq_f32_e64 s[4:5], s23, v38
	v_cndmask_b32_e64 v24, |v24|, v40, s[4:5]
	s_or_b64 vcc, vcc, s[2:3]
	v_cndmask_b32_e32 v24, v24, v39, vcc
	v_cmp_o_f32_e32 vcc, v23, v22
	v_cndmask_b32_e32 v22, v18, v24, vcc
	v_mul_f32_e32 v21, v21, v22
	v_mul_f32_e32 v21, v12, v21
	v_div_scale_f32 v22, s[2:3], v19, v19, v21
	v_rcp_f32_e32 v23, v22
	v_div_scale_f32 v24, vcc, v21, v19, v21
	v_fma_f32 v25, -v22, v23, 1.0
	v_fmac_f32_e32 v23, v25, v23
	v_mul_f32_e32 v25, v24, v23
	v_fma_f32 v26, -v22, v25, v24
	v_fmac_f32_e32 v25, v26, v23
	v_fma_f32 v22, -v22, v25, v24
	v_div_fmas_f32 v22, v22, v23, v25
	v_div_fixup_f32 v21, v22, v19, v21
	s_branch .LBB25_3
.LBB25_6:
	s_endpgm
	.section	.rodata,"a",@progbits
	.p2align	6, 0x0
	.amdhsa_kernel _ZN2at6native12_GLOBAL__N_131pdist_backward_kernel_cuda_implIfNS1_5distsIfE1pEEEvPT_PKS6_S9_S9_llllS6_dd
		.amdhsa_group_segment_fixed_size 0
		.amdhsa_private_segment_fixed_size 0
		.amdhsa_kernarg_size 344
		.amdhsa_user_sgpr_count 6
		.amdhsa_user_sgpr_private_segment_buffer 1
		.amdhsa_user_sgpr_dispatch_ptr 0
		.amdhsa_user_sgpr_queue_ptr 0
		.amdhsa_user_sgpr_kernarg_segment_ptr 1
		.amdhsa_user_sgpr_dispatch_id 0
		.amdhsa_user_sgpr_flat_scratch_init 0
		.amdhsa_user_sgpr_kernarg_preload_length 0
		.amdhsa_user_sgpr_kernarg_preload_offset 0
		.amdhsa_user_sgpr_private_segment_size 0
		.amdhsa_uses_dynamic_stack 0
		.amdhsa_system_sgpr_private_segment_wavefront_offset 0
		.amdhsa_system_sgpr_workgroup_id_x 1
		.amdhsa_system_sgpr_workgroup_id_y 1
		.amdhsa_system_sgpr_workgroup_id_z 0
		.amdhsa_system_sgpr_workgroup_info 0
		.amdhsa_system_vgpr_workitem_id 1
		.amdhsa_next_free_vgpr 44
		.amdhsa_next_free_sgpr 27
		.amdhsa_accum_offset 44
		.amdhsa_reserve_vcc 1
		.amdhsa_reserve_flat_scratch 0
		.amdhsa_float_round_mode_32 0
		.amdhsa_float_round_mode_16_64 0
		.amdhsa_float_denorm_mode_32 3
		.amdhsa_float_denorm_mode_16_64 3
		.amdhsa_dx10_clamp 1
		.amdhsa_ieee_mode 1
		.amdhsa_fp16_overflow 0
		.amdhsa_tg_split 0
		.amdhsa_exception_fp_ieee_invalid_op 0
		.amdhsa_exception_fp_denorm_src 0
		.amdhsa_exception_fp_ieee_div_zero 0
		.amdhsa_exception_fp_ieee_overflow 0
		.amdhsa_exception_fp_ieee_underflow 0
		.amdhsa_exception_fp_ieee_inexact 0
		.amdhsa_exception_int_div_zero 0
	.end_amdhsa_kernel
	.section	.text._ZN2at6native12_GLOBAL__N_131pdist_backward_kernel_cuda_implIfNS1_5distsIfE1pEEEvPT_PKS6_S9_S9_llllS6_dd,"axG",@progbits,_ZN2at6native12_GLOBAL__N_131pdist_backward_kernel_cuda_implIfNS1_5distsIfE1pEEEvPT_PKS6_S9_S9_llllS6_dd,comdat
.Lfunc_end25:
	.size	_ZN2at6native12_GLOBAL__N_131pdist_backward_kernel_cuda_implIfNS1_5distsIfE1pEEEvPT_PKS6_S9_S9_llllS6_dd, .Lfunc_end25-_ZN2at6native12_GLOBAL__N_131pdist_backward_kernel_cuda_implIfNS1_5distsIfE1pEEEvPT_PKS6_S9_S9_llllS6_dd
                                        ; -- End function
	.section	.AMDGPU.csdata,"",@progbits
; Kernel info:
; codeLenInByte = 3216
; NumSgprs: 31
; NumVgprs: 44
; NumAgprs: 0
; TotalNumVgprs: 44
; ScratchSize: 0
; MemoryBound: 0
; FloatMode: 240
; IeeeMode: 1
; LDSByteSize: 0 bytes/workgroup (compile time only)
; SGPRBlocks: 3
; VGPRBlocks: 5
; NumSGPRsForWavesPerEU: 31
; NumVGPRsForWavesPerEU: 44
; AccumOffset: 44
; Occupancy: 8
; WaveLimiterHint : 0
; COMPUTE_PGM_RSRC2:SCRATCH_EN: 0
; COMPUTE_PGM_RSRC2:USER_SGPR: 6
; COMPUTE_PGM_RSRC2:TRAP_HANDLER: 0
; COMPUTE_PGM_RSRC2:TGID_X_EN: 1
; COMPUTE_PGM_RSRC2:TGID_Y_EN: 1
; COMPUTE_PGM_RSRC2:TGID_Z_EN: 0
; COMPUTE_PGM_RSRC2:TIDIG_COMP_CNT: 1
; COMPUTE_PGM_RSRC3_GFX90A:ACCUM_OFFSET: 10
; COMPUTE_PGM_RSRC3_GFX90A:TG_SPLIT: 0
	.section	.text._ZN2at6native12_GLOBAL__N_131pdist_backward_kernel_cuda_implIfNS1_5distsIfE3oneEEEvPT_PKS6_S9_S9_llllS6_dd,"axG",@progbits,_ZN2at6native12_GLOBAL__N_131pdist_backward_kernel_cuda_implIfNS1_5distsIfE3oneEEEvPT_PKS6_S9_S9_llllS6_dd,comdat
	.globl	_ZN2at6native12_GLOBAL__N_131pdist_backward_kernel_cuda_implIfNS1_5distsIfE3oneEEEvPT_PKS6_S9_S9_llllS6_dd ; -- Begin function _ZN2at6native12_GLOBAL__N_131pdist_backward_kernel_cuda_implIfNS1_5distsIfE3oneEEEvPT_PKS6_S9_S9_llllS6_dd
	.p2align	8
	.type	_ZN2at6native12_GLOBAL__N_131pdist_backward_kernel_cuda_implIfNS1_5distsIfE3oneEEEvPT_PKS6_S9_S9_llllS6_dd,@function
_ZN2at6native12_GLOBAL__N_131pdist_backward_kernel_cuda_implIfNS1_5distsIfE3oneEEEvPT_PKS6_S9_S9_llllS6_dd: ; @_ZN2at6native12_GLOBAL__N_131pdist_backward_kernel_cuda_implIfNS1_5distsIfE3oneEEEvPT_PKS6_S9_S9_llllS6_dd
; %bb.0:
	s_load_dwordx8 s[8:15], s[4:5], 0x20
	s_load_dword s0, s[4:5], 0x64
	s_add_u32 s20, s4, 0x58
	s_addc_u32 s21, s5, 0
	v_and_b32_e32 v2, 0x3ff, v0
	v_mov_b32_e32 v3, 0
	s_waitcnt lgkmcnt(0)
	s_and_b32 s1, s0, 0xffff
	v_mov_b32_e32 v1, s6
	v_mad_u64_u32 v[6:7], s[2:3], s1, v1, v[2:3]
	v_cmp_gt_i64_e32 vcc, s[14:15], v[6:7]
	s_and_saveexec_b64 s[2:3], vcc
	s_cbranch_execz .LBB26_4
; %bb.1:
	s_lshr_b32 s14, s0, 16
	s_mul_i32 s7, s7, s14
	v_bfe_u32 v0, v0, 10, 10
	v_add_u32_e32 v2, s7, v0
	v_ashrrev_i32_e32 v3, 31, v2
	v_cmp_gt_i64_e32 vcc, s[12:13], v[2:3]
	s_and_b64 exec, exec, vcc
	s_cbranch_execz .LBB26_4
; %bb.2:
	s_load_dwordx4 s[16:19], s[4:5], 0x48
	v_lshlrev_b64 v[0:1], 1, v[6:7]
	v_cvt_f64_u32_e32 v[4:5], v1
	v_ldexp_f64 v[4:5], v[4:5], 32
	v_cvt_f64_u32_e32 v[0:1], v0
	v_add_f64 v[0:1], v[4:5], v[0:1]
	s_mov_b32 s0, 0
	s_waitcnt lgkmcnt(0)
	v_add_f64 v[0:1], s[18:19], -v[0:1]
	s_brev_b32 s1, 8
	v_cmp_gt_f64_e32 vcc, s[0:1], v[0:1]
	v_cndmask_b32_e64 v4, 0, 1, vcc
	v_lshlrev_b32_e32 v4, 8, v4
	v_ldexp_f64 v[0:1], v[0:1], v4
	v_rsq_f64_e32 v[4:5], v[0:1]
	s_load_dwordx4 s[0:3], s[4:5], 0x0
	s_load_dwordx2 s[6:7], s[4:5], 0x10
	s_load_dword s15, s[20:21], 0x4
	s_movk_i32 s4, 0xffe0
	v_lshlrev_b64 v[2:3], 2, v[2:3]
	v_mul_f64 v[8:9], v[0:1], v[4:5]
	v_mul_f64 v[4:5], v[4:5], 0.5
	v_fma_f64 v[10:11], -v[4:5], v[8:9], 0.5
	v_fmac_f64_e32 v[8:9], v[8:9], v[10:11]
	v_fma_f64 v[12:13], -v[8:9], v[8:9], v[0:1]
	v_fmac_f64_e32 v[4:5], v[4:5], v[10:11]
	v_fmac_f64_e32 v[8:9], v[12:13], v[4:5]
	v_fma_f64 v[10:11], -v[8:9], v[8:9], v[0:1]
	v_fmac_f64_e32 v[8:9], v[10:11], v[4:5]
	v_mov_b32_e32 v4, 0xffffff80
	v_cndmask_b32_e32 v4, 0, v4, vcc
	v_ldexp_f64 v[4:5], v[8:9], v4
	v_mov_b32_e32 v8, 0x260
	v_cmp_class_f64_e32 vcc, v[0:1], v8
	v_cndmask_b32_e32 v1, v5, v1, vcc
	v_cndmask_b32_e32 v0, v4, v0, vcc
	v_add_f64 v[0:1], s[16:17], -v[0:1]
	v_trunc_f64_e32 v[0:1], v[0:1]
	v_ldexp_f64 v[4:5], v[0:1], s4
	v_floor_f64_e32 v[4:5], v[4:5]
	v_fmac_f64_e32 v[0:1], 0xc1f00000, v[4:5]
	v_cvt_u32_f64_e32 v14, v[0:1]
	v_cvt_i32_f64_e32 v15, v[4:5]
	v_mul_lo_u32 v4, v7, s8
	v_mul_lo_u32 v5, v6, s9
	v_mad_u64_u32 v[0:1], s[4:5], v6, s8, 0
	v_add3_u32 v1, v1, v5, v4
	v_lshlrev_b64 v[0:1], 2, v[0:1]
	s_waitcnt lgkmcnt(0)
	v_mov_b32_e32 v4, s3
	v_add_co_u32_e32 v0, vcc, s2, v0
	v_addc_co_u32_e32 v1, vcc, v4, v1, vcc
	global_load_dword v8, v[0:1], off
	v_mul_lo_u32 v4, v14, s13
	v_mad_u64_u32 v[0:1], s[2:3], v14, s12, 0
	v_mul_lo_u32 v5, v15, s12
	v_add3_u32 v1, v1, v4, v5
	v_lshlrev_b64 v[0:1], 2, v[0:1]
	v_mov_b32_e32 v18, s7
	v_add_co_u32_e32 v9, vcc, s6, v0
	v_addc_co_u32_e32 v10, vcc, v18, v1, vcc
	s_lshl_b64 s[2:3], s[12:13], 2
	v_mov_b32_e32 v1, s3
	v_add_co_u32_e32 v0, vcc, s2, v9
	v_addc_co_u32_e32 v1, vcc, v10, v1, vcc
	v_add_co_u32_e32 v4, vcc, v9, v2
	v_addc_co_u32_e32 v5, vcc, v10, v3, vcc
	;; [unrolled: 2-line block ×3, first 2 shown]
	v_mul_lo_u32 v16, v19, v14
	v_mul_hi_u32 v12, v11, v14
	v_mul_lo_u32 v17, v11, v15
	v_add3_u32 v12, v12, v17, v16
	v_mov_b32_e32 v13, 0
	v_lshrrev_b32_e32 v12, 31, v12
	v_mad_u64_u32 v[12:13], s[4:5], v11, v14, v[12:13]
	v_add3_u32 v13, v16, v13, v17
	v_mul_lo_u32 v20, v14, s11
	v_mad_u64_u32 v[16:17], s[4:5], v14, s10, 0
	v_mul_lo_u32 v21, v15, s10
	v_add3_u32 v17, v17, v20, v21
	v_sub_co_u32_e32 v6, vcc, v6, v16
	v_ashrrev_i64 v[12:13], 1, v[12:13]
	v_subb_co_u32_e32 v7, vcc, v7, v17, vcc
	v_add_co_u32_e32 v6, vcc, v12, v6
	v_addc_co_u32_e32 v7, vcc, v13, v7, vcc
	v_add_co_u32_e32 v12, vcc, v11, v6
	v_addc_co_u32_e32 v13, vcc, v19, v7, vcc
	v_mov_b32_e32 v11, s11
	v_sub_co_u32_e32 v16, vcc, s10, v14
	v_subb_co_u32_e32 v11, vcc, v11, v15, vcc
	v_add_co_u32_e32 v19, vcc, -2, v16
	v_addc_co_u32_e32 v11, vcc, -1, v11, vcc
	v_mad_u64_u32 v[16:17], s[4:5], v19, s10, v[12:13]
	v_mul_lo_u32 v19, v19, s11
	v_mul_lo_u32 v11, v11, s10
	v_add3_u32 v17, v11, v17, v19
	v_mul_lo_u32 v11, v6, s11
	v_mul_lo_u32 v19, v7, s10
	v_mad_u64_u32 v[6:7], s[4:5], v6, s10, v[14:15]
	v_add3_u32 v7, v19, v7, v11
	v_mul_lo_u32 v11, v7, s12
	v_mul_lo_u32 v14, v6, s13
	v_mad_u64_u32 v[6:7], s[4:5], v6, s12, 0
	v_add3_u32 v7, v7, v14, v11
	v_lshlrev_b64 v[6:7], 2, v[6:7]
	v_mov_b32_e32 v11, s1
	v_add_co_u32_e32 v6, vcc, s0, v6
	v_addc_co_u32_e32 v7, vcc, v11, v7, vcc
	v_mul_lo_u32 v11, v13, s12
	v_mul_lo_u32 v14, v12, s13
	v_mad_u64_u32 v[12:13], s[4:5], v12, s12, 0
	v_add3_u32 v13, v13, v14, v11
	v_lshlrev_b64 v[12:13], 2, v[12:13]
	v_add_co_u32_e32 v11, vcc, s6, v12
	v_addc_co_u32_e32 v12, vcc, v18, v13, vcc
	v_mul_lo_u32 v13, s13, v16
	v_mul_lo_u32 v17, s12, v17
	v_mad_u64_u32 v[14:15], s[4:5], s12, v16, 0
	v_add3_u32 v15, v15, v17, v13
	s_mul_i32 s2, s15, s14
	v_lshlrev_b64 v[14:15], 2, v[14:15]
	s_ashr_i32 s3, s2, 31
	v_mov_b32_e32 v16, s1
	v_add_co_u32_e32 v13, vcc, s0, v14
	v_addc_co_u32_e32 v14, vcc, v16, v15, vcc
	s_lshl_b64 s[2:3], s[2:3], 2
	s_mov_b64 s[4:5], 0
.LBB26_3:                               ; =>This Inner Loop Header: Depth=1
	v_add_co_u32_e32 v16, vcc, v11, v2
	v_addc_co_u32_e32 v17, vcc, v12, v3, vcc
	v_add_co_u32_e32 v18, vcc, v9, v2
	v_addc_co_u32_e32 v19, vcc, v10, v3, vcc
	global_load_dword v15, v[18:19], off
	global_load_dword v20, v[16:17], off
	v_add_co_u32_e32 v16, vcc, v13, v2
	v_addc_co_u32_e32 v17, vcc, v14, v3, vcc
	v_add_co_u32_e32 v18, vcc, v6, v2
	v_addc_co_u32_e32 v19, vcc, v7, v3, vcc
	v_mov_b32_e32 v21, s3
	v_add_co_u32_e32 v2, vcc, s2, v2
	v_addc_co_u32_e32 v3, vcc, v3, v21, vcc
	v_add_co_u32_e64 v4, s[0:1], s2, v4
	v_addc_co_u32_e64 v5, s[0:1], v5, v21, s[0:1]
	s_waitcnt vmcnt(0)
	v_sub_f32_e32 v15, v15, v20
	v_cmp_lt_f32_e32 vcc, 0, v15
	v_cndmask_b32_e64 v20, 0, 1, vcc
	v_cmp_gt_f32_e32 vcc, 0, v15
	v_subbrev_co_u32_e32 v15, vcc, 0, v20, vcc
	v_cvt_f32_i32_e32 v15, v15
	v_cmp_ge_u64_e32 vcc, v[4:5], v[0:1]
	s_or_b64 s[4:5], vcc, s[4:5]
	v_mul_f32_e32 v15, v8, v15
	global_store_dword v[18:19], v15, off
	v_xor_b32_e32 v15, 0x80000000, v15
	global_store_dword v[16:17], v15, off
	s_andn2_b64 exec, exec, s[4:5]
	s_cbranch_execnz .LBB26_3
.LBB26_4:
	s_endpgm
	.section	.rodata,"a",@progbits
	.p2align	6, 0x0
	.amdhsa_kernel _ZN2at6native12_GLOBAL__N_131pdist_backward_kernel_cuda_implIfNS1_5distsIfE3oneEEEvPT_PKS6_S9_S9_llllS6_dd
		.amdhsa_group_segment_fixed_size 0
		.amdhsa_private_segment_fixed_size 0
		.amdhsa_kernarg_size 344
		.amdhsa_user_sgpr_count 6
		.amdhsa_user_sgpr_private_segment_buffer 1
		.amdhsa_user_sgpr_dispatch_ptr 0
		.amdhsa_user_sgpr_queue_ptr 0
		.amdhsa_user_sgpr_kernarg_segment_ptr 1
		.amdhsa_user_sgpr_dispatch_id 0
		.amdhsa_user_sgpr_flat_scratch_init 0
		.amdhsa_user_sgpr_kernarg_preload_length 0
		.amdhsa_user_sgpr_kernarg_preload_offset 0
		.amdhsa_user_sgpr_private_segment_size 0
		.amdhsa_uses_dynamic_stack 0
		.amdhsa_system_sgpr_private_segment_wavefront_offset 0
		.amdhsa_system_sgpr_workgroup_id_x 1
		.amdhsa_system_sgpr_workgroup_id_y 1
		.amdhsa_system_sgpr_workgroup_id_z 0
		.amdhsa_system_sgpr_workgroup_info 0
		.amdhsa_system_vgpr_workitem_id 1
		.amdhsa_next_free_vgpr 22
		.amdhsa_next_free_sgpr 22
		.amdhsa_accum_offset 24
		.amdhsa_reserve_vcc 1
		.amdhsa_reserve_flat_scratch 0
		.amdhsa_float_round_mode_32 0
		.amdhsa_float_round_mode_16_64 0
		.amdhsa_float_denorm_mode_32 3
		.amdhsa_float_denorm_mode_16_64 3
		.amdhsa_dx10_clamp 1
		.amdhsa_ieee_mode 1
		.amdhsa_fp16_overflow 0
		.amdhsa_tg_split 0
		.amdhsa_exception_fp_ieee_invalid_op 0
		.amdhsa_exception_fp_denorm_src 0
		.amdhsa_exception_fp_ieee_div_zero 0
		.amdhsa_exception_fp_ieee_overflow 0
		.amdhsa_exception_fp_ieee_underflow 0
		.amdhsa_exception_fp_ieee_inexact 0
		.amdhsa_exception_int_div_zero 0
	.end_amdhsa_kernel
	.section	.text._ZN2at6native12_GLOBAL__N_131pdist_backward_kernel_cuda_implIfNS1_5distsIfE3oneEEEvPT_PKS6_S9_S9_llllS6_dd,"axG",@progbits,_ZN2at6native12_GLOBAL__N_131pdist_backward_kernel_cuda_implIfNS1_5distsIfE3oneEEEvPT_PKS6_S9_S9_llllS6_dd,comdat
.Lfunc_end26:
	.size	_ZN2at6native12_GLOBAL__N_131pdist_backward_kernel_cuda_implIfNS1_5distsIfE3oneEEEvPT_PKS6_S9_S9_llllS6_dd, .Lfunc_end26-_ZN2at6native12_GLOBAL__N_131pdist_backward_kernel_cuda_implIfNS1_5distsIfE3oneEEEvPT_PKS6_S9_S9_llllS6_dd
                                        ; -- End function
	.section	.AMDGPU.csdata,"",@progbits
; Kernel info:
; codeLenInByte = 1048
; NumSgprs: 26
; NumVgprs: 22
; NumAgprs: 0
; TotalNumVgprs: 22
; ScratchSize: 0
; MemoryBound: 0
; FloatMode: 240
; IeeeMode: 1
; LDSByteSize: 0 bytes/workgroup (compile time only)
; SGPRBlocks: 3
; VGPRBlocks: 2
; NumSGPRsForWavesPerEU: 26
; NumVGPRsForWavesPerEU: 22
; AccumOffset: 24
; Occupancy: 8
; WaveLimiterHint : 1
; COMPUTE_PGM_RSRC2:SCRATCH_EN: 0
; COMPUTE_PGM_RSRC2:USER_SGPR: 6
; COMPUTE_PGM_RSRC2:TRAP_HANDLER: 0
; COMPUTE_PGM_RSRC2:TGID_X_EN: 1
; COMPUTE_PGM_RSRC2:TGID_Y_EN: 1
; COMPUTE_PGM_RSRC2:TGID_Z_EN: 0
; COMPUTE_PGM_RSRC2:TIDIG_COMP_CNT: 1
; COMPUTE_PGM_RSRC3_GFX90A:ACCUM_OFFSET: 5
; COMPUTE_PGM_RSRC3_GFX90A:TG_SPLIT: 0
	.section	.text._ZN2at6native12_GLOBAL__N_131pdist_backward_kernel_cuda_implIfNS1_5distsIfE6lt_twoEEEvPT_PKS6_S9_S9_llllS6_dd,"axG",@progbits,_ZN2at6native12_GLOBAL__N_131pdist_backward_kernel_cuda_implIfNS1_5distsIfE6lt_twoEEEvPT_PKS6_S9_S9_llllS6_dd,comdat
	.globl	_ZN2at6native12_GLOBAL__N_131pdist_backward_kernel_cuda_implIfNS1_5distsIfE6lt_twoEEEvPT_PKS6_S9_S9_llllS6_dd ; -- Begin function _ZN2at6native12_GLOBAL__N_131pdist_backward_kernel_cuda_implIfNS1_5distsIfE6lt_twoEEEvPT_PKS6_S9_S9_llllS6_dd
	.p2align	8
	.type	_ZN2at6native12_GLOBAL__N_131pdist_backward_kernel_cuda_implIfNS1_5distsIfE6lt_twoEEEvPT_PKS6_S9_S9_llllS6_dd,@function
_ZN2at6native12_GLOBAL__N_131pdist_backward_kernel_cuda_implIfNS1_5distsIfE6lt_twoEEEvPT_PKS6_S9_S9_llllS6_dd: ; @_ZN2at6native12_GLOBAL__N_131pdist_backward_kernel_cuda_implIfNS1_5distsIfE6lt_twoEEEvPT_PKS6_S9_S9_llllS6_dd
; %bb.0:
	s_load_dwordx16 s[8:23], s[4:5], 0x0
	s_load_dword s0, s[4:5], 0x64
	s_add_u32 s24, s4, 0x58
	s_addc_u32 s25, s5, 0
	v_and_b32_e32 v2, 0x3ff, v0
	v_mov_b32_e32 v3, 0
	s_waitcnt lgkmcnt(0)
	s_and_b32 s1, s0, 0xffff
	v_mov_b32_e32 v1, s6
	v_mad_u64_u32 v[6:7], s[2:3], s1, v1, v[2:3]
	v_cmp_gt_i64_e32 vcc, s[22:23], v[6:7]
	s_and_saveexec_b64 s[2:3], vcc
	s_cbranch_execz .LBB27_6
; %bb.1:
	s_lshr_b32 s6, s0, 16
	s_mul_i32 s7, s7, s6
	v_bfe_u32 v0, v0, 10, 10
	v_add_u32_e32 v2, s7, v0
	v_ashrrev_i32_e32 v3, 31, v2
	v_cmp_gt_i64_e32 vcc, s[20:21], v[2:3]
	s_and_b64 exec, exec, vcc
	s_cbranch_execz .LBB27_6
; %bb.2:
	s_load_dwordx4 s[0:3], s[4:5], 0x48
	v_lshlrev_b64 v[0:1], 1, v[6:7]
	v_cvt_f64_u32_e32 v[4:5], v1
	v_ldexp_f64 v[4:5], v[4:5], 32
	v_cvt_f64_u32_e32 v[0:1], v0
	v_add_f64 v[0:1], v[4:5], v[0:1]
	s_waitcnt lgkmcnt(0)
	v_add_f64 v[0:1], s[2:3], -v[0:1]
	s_mov_b32 s2, 0
	s_brev_b32 s3, 8
	v_cmp_gt_f64_e32 vcc, s[2:3], v[0:1]
	v_cndmask_b32_e64 v4, 0, 1, vcc
	v_lshlrev_b32_e32 v4, 8, v4
	v_ldexp_f64 v[0:1], v[0:1], v4
	v_rsq_f64_e32 v[4:5], v[0:1]
	s_load_dword s2, s[4:5], 0x40
	s_load_dword s3, s[24:25], 0x4
	v_lshlrev_b64 v[2:3], 2, v[2:3]
	s_mov_b32 s22, 0xc2ce8ed0
	v_mul_f64 v[8:9], v[0:1], v[4:5]
	v_mul_f64 v[4:5], v[4:5], 0.5
	v_fma_f64 v[10:11], -v[4:5], v[8:9], 0.5
	v_fmac_f64_e32 v[8:9], v[8:9], v[10:11]
	v_fma_f64 v[12:13], -v[8:9], v[8:9], v[0:1]
	v_fmac_f64_e32 v[4:5], v[4:5], v[10:11]
	v_fmac_f64_e32 v[8:9], v[12:13], v[4:5]
	v_fma_f64 v[10:11], -v[8:9], v[8:9], v[0:1]
	v_fmac_f64_e32 v[8:9], v[10:11], v[4:5]
	v_mov_b32_e32 v4, 0xffffff80
	v_cndmask_b32_e32 v4, 0, v4, vcc
	v_ldexp_f64 v[4:5], v[8:9], v4
	v_mov_b32_e32 v8, 0x260
	v_cmp_class_f64_e32 vcc, v[0:1], v8
	v_cndmask_b32_e32 v1, v5, v1, vcc
	v_cndmask_b32_e32 v0, v4, v0, vcc
	v_add_f64 v[0:1], s[0:1], -v[0:1]
	v_trunc_f64_e32 v[0:1], v[0:1]
	s_movk_i32 s0, 0xffe0
	v_ldexp_f64 v[4:5], v[0:1], s0
	v_floor_f64_e32 v[4:5], v[4:5]
	v_fmac_f64_e32 v[0:1], 0xc1f00000, v[4:5]
	v_cvt_u32_f64_e32 v8, v[0:1]
	v_cvt_i32_f64_e32 v9, v[4:5]
	v_mul_lo_u32 v4, v7, s16
	v_mul_lo_u32 v5, v6, s17
	v_mad_u64_u32 v[0:1], s[0:1], v6, s16, 0
	v_add3_u32 v1, v1, v5, v4
	v_lshlrev_b64 v[0:1], 2, v[0:1]
	v_mov_b32_e32 v4, s11
	v_add_co_u32_e32 v0, vcc, s10, v0
	v_addc_co_u32_e32 v1, vcc, v4, v1, vcc
	global_load_dword v12, v[0:1], off
	v_mul_lo_u32 v4, v8, s21
	v_mad_u64_u32 v[0:1], s[0:1], v8, s20, 0
	v_mul_lo_u32 v5, v9, s20
	v_add3_u32 v1, v1, v4, v5
	v_lshlrev_b64 v[0:1], 2, v[0:1]
	v_mov_b32_e32 v4, s13
	v_add_co_u32_e32 v13, vcc, s12, v0
	v_addc_co_u32_e32 v14, vcc, v4, v1, vcc
	v_lshlrev_b64 v[0:1], 2, v[6:7]
	v_mov_b32_e32 v5, s15
	v_add_co_u32_e32 v0, vcc, s14, v0
	v_addc_co_u32_e32 v1, vcc, v5, v1, vcc
	global_load_dword v18, v[0:1], off
	s_lshl_b64 s[0:1], s[20:21], 2
	v_mov_b32_e32 v4, s1
	v_add_co_u32_e32 v0, vcc, s0, v13
	v_addc_co_u32_e32 v1, vcc, v14, v4, vcc
	v_add_co_u32_e32 v4, vcc, v13, v2
	v_addc_co_u32_e32 v5, vcc, v14, v3, vcc
	;; [unrolled: 2-line block ×3, first 2 shown]
	v_mul_lo_u32 v16, v19, v8
	v_mul_hi_u32 v10, v15, v8
	v_mul_lo_u32 v17, v15, v9
	v_add3_u32 v10, v10, v17, v16
	v_mov_b32_e32 v11, 0
	v_lshrrev_b32_e32 v10, 31, v10
	v_mad_u64_u32 v[10:11], s[0:1], v15, v8, v[10:11]
	v_add3_u32 v11, v16, v11, v17
	v_mul_lo_u32 v20, v8, s19
	v_mad_u64_u32 v[16:17], s[0:1], v8, s18, 0
	v_mul_lo_u32 v21, v9, s18
	v_add3_u32 v17, v17, v20, v21
	v_sub_co_u32_e32 v6, vcc, v6, v16
	v_ashrrev_i64 v[10:11], 1, v[10:11]
	v_subb_co_u32_e32 v7, vcc, v7, v17, vcc
	v_add_co_u32_e32 v16, vcc, v10, v6
	v_addc_co_u32_e32 v17, vcc, v11, v7, vcc
	v_add_co_u32_e32 v10, vcc, v15, v16
	v_addc_co_u32_e32 v11, vcc, v19, v17, vcc
	v_mov_b32_e32 v6, s19
	v_sub_co_u32_e32 v7, vcc, s18, v8
	v_subb_co_u32_e32 v6, vcc, v6, v9, vcc
	v_add_co_u32_e32 v15, vcc, -2, v7
	v_addc_co_u32_e32 v19, vcc, -1, v6, vcc
	v_mad_u64_u32 v[6:7], s[0:1], v15, s18, v[10:11]
	v_mul_lo_u32 v15, v15, s19
	v_mul_lo_u32 v19, v19, s18
	v_add3_u32 v20, v19, v7, v15
	v_mul_lo_u32 v7, v16, s19
	v_mul_lo_u32 v15, v17, s18
	v_mad_u64_u32 v[8:9], s[0:1], v16, s18, v[8:9]
	v_add3_u32 v7, v15, v9, v7
	v_mul_lo_u32 v7, v7, s20
	v_mul_lo_u32 v15, v8, s21
	v_mad_u64_u32 v[8:9], s[0:1], v8, s20, 0
	v_add3_u32 v9, v9, v15, v7
	v_lshlrev_b64 v[8:9], 2, v[8:9]
	v_mov_b32_e32 v15, s9
	v_add_co_u32_e32 v7, vcc, s8, v8
	v_addc_co_u32_e32 v8, vcc, v15, v9, vcc
	v_mul_lo_u32 v9, v11, s20
	v_mul_lo_u32 v15, v10, s21
	v_mad_u64_u32 v[10:11], s[0:1], v10, s20, 0
	v_add3_u32 v11, v11, v15, v9
	v_lshlrev_b64 v[10:11], 2, v[10:11]
	v_mov_b32_e32 v15, s13
	v_add_co_u32_e32 v9, vcc, s12, v10
	v_addc_co_u32_e32 v10, vcc, v15, v11, vcc
	s_waitcnt lgkmcnt(0)
	v_add_f32_e64 v11, s2, -1.0
	s_waitcnt vmcnt(0)
	v_cmp_eq_f32_e32 vcc, 1.0, v18
	v_cndmask_b32_e64 v21, v11, 1.0, vcc
	s_mul_i32 s10, s3, s6
	v_cmp_lt_f32_e64 s[6:7], s2, 1.0
	v_cmp_eq_f32_e64 s[2:3], 0, v21
	v_cndmask_b32_e64 v36, |v18|, 1.0, s[2:3]
	v_frexp_mant_f32_e32 v15, v36
	s_mov_b32 s14, 0x3f2aaaab
	v_cmp_gt_f32_e64 s[4:5], s14, v15
	v_cndmask_b32_e64 v16, 1.0, 2.0, s[4:5]
	v_mul_f32_e32 v15, v15, v16
	v_add_f32_e32 v16, 1.0, v15
	v_rcp_f32_e32 v19, v16
	v_add_f32_e32 v17, -1.0, v16
	v_sub_f32_e32 v23, v15, v17
	v_add_f32_e32 v17, -1.0, v15
	v_mul_f32_e32 v15, v17, v19
	v_mul_f32_e32 v22, v16, v15
	v_fma_f32 v24, v15, v16, -v22
	v_fmac_f32_e32 v24, v15, v23
	v_add_f32_e32 v16, v22, v24
	v_sub_f32_e32 v23, v17, v16
	v_pk_add_f32 v[26:27], v[16:17], v[22:23] neg_lo:[0,1] neg_hi:[0,1]
	v_mov_b32_e32 v25, v16
	v_pk_add_f32 v[16:17], v[26:27], v[24:25] neg_lo:[0,1] neg_hi:[0,1]
	v_add_f32_e32 v16, v16, v17
	v_add_f32_e32 v16, v23, v16
	v_mul_f32_e32 v17, v19, v16
	v_add_f32_e32 v16, v15, v17
	v_sub_f32_e32 v15, v16, v15
	v_sub_f32_e32 v19, v17, v15
	v_mul_f32_e32 v17, v16, v16
	v_fma_f32 v23, v16, v16, -v17
	v_add_f32_e32 v15, v19, v19
	v_fmac_f32_e32 v23, v16, v15
	v_add_f32_e32 v22, v17, v23
	v_mov_b32_e32 v24, 0x3e91f4c4
	v_fmac_f32_e32 v24, 0x3e76c4e1, v22
	v_mov_b32_e32 v15, 0x3ecccdef
	v_fma_f32 v24, v22, v24, v15
	v_sub_f32_e32 v17, v22, v17
	v_sub_f32_e32 v30, v23, v17
	v_mul_f32_e32 v17, v22, v24
	v_fma_f32 v23, v22, v24, -v17
	v_fmac_f32_e32 v23, v30, v24
	v_add_f32_e32 v24, v17, v23
	v_add_f32_e32 v25, 0x3f2aaaaa, v24
	v_sub_f32_e32 v17, v24, v17
	v_sub_f32_e32 v17, v23, v17
	v_add_f32_e32 v23, 0xbf2aaaaa, v25
	v_add_f32_e32 v17, 0x31739010, v17
	v_sub_f32_e32 v23, v24, v23
	v_pk_mul_f32 v[26:27], v[16:17], v[22:23]
	v_fma_f32 v24, v22, v16, -v26
	v_pk_add_f32 v[28:29], v[16:17], v[22:23]
	v_fmac_f32_e32 v24, v22, v19
	v_mov_b32_e32 v27, v29
	v_fmac_f32_e32 v24, v30, v16
	v_pk_add_f32 v[22:23], v[26:27], v[24:25]
	v_sub_f32_e32 v17, v22, v26
	v_sub_f32_e32 v17, v24, v17
	;; [unrolled: 1-line block ×3, first 2 shown]
	v_add_f32_e32 v27, v29, v24
	v_mov_b32_e32 v24, v23
	v_pk_mul_f32 v[24:25], v[22:23], v[24:25]
	v_cvt_f64_f32_e32 v[28:29], v36
	v_frexp_exp_i32_f64_e32 v25, v[28:29]
	v_subbrev_co_u32_e64 v25, s[4:5], 0, v25, s[4:5]
	v_cvt_f32_i32_e32 v25, v25
	v_fma_f32 v26, v22, v23, -v24
	v_fmac_f32_e32 v26, v22, v27
	s_mov_b32 s15, 0x3f317218
	v_mul_f32_e32 v22, 0x3f317218, v25
	v_fmac_f32_e32 v26, v17, v23
	v_fma_f32 v28, v25, s15, -v22
	v_fmac_f32_e32 v28, 0xb102e308, v25
	v_ldexp_f32 v29, v16, 1
	v_add_f32_e32 v23, v24, v26
	v_pk_add_f32 v[16:17], v[22:23], v[28:29]
	v_mov_b32_e32 v30, v23
	v_mov_b32_e32 v31, v17
	v_mov_b32_e32 v25, v29
	v_pk_add_f32 v[24:25], v[30:31], v[24:25] neg_lo:[0,1] neg_hi:[0,1]
	v_mov_b32_e32 v27, v23
	v_ldexp_f32 v19, v19, 1
	v_pk_add_f32 v[24:25], v[26:27], v[24:25] neg_lo:[0,1] neg_hi:[0,1]
	v_add_f32_e32 v19, v19, v24
	v_add_f32_e32 v23, v19, v25
	v_pk_add_f32 v[24:25], v[16:17], v[22:23] neg_lo:[0,1] neg_hi:[0,1]
	v_pk_add_f32 v[26:27], v[16:17], v[22:23]
	v_mov_b32_e32 v30, v24
	v_mov_b32_e32 v31, v27
	;; [unrolled: 1-line block ×3, first 2 shown]
	v_pk_add_f32 v[30:31], v[28:29], v[30:31]
	v_mov_b32_e32 v22, v31
	v_pk_add_f32 v[32:33], v[22:23], v[16:17] neg_lo:[0,1] neg_hi:[0,1]
	v_mov_b32_e32 v19, v32
	v_mov_b32_e32 v30, v27
	;; [unrolled: 1-line block ×4, first 2 shown]
	v_pk_add_f32 v[24:25], v[28:29], v[24:25] neg_lo:[0,1] neg_hi:[0,1]
	v_pk_add_f32 v[34:35], v[26:27], v[18:19] neg_lo:[0,1] neg_hi:[0,1]
	;; [unrolled: 1-line block ×3, first 2 shown]
	v_mov_b32_e32 v28, v23
	v_pk_add_f32 v[16:17], v[28:29], v[16:17] neg_lo:[0,1] neg_hi:[0,1]
	v_mov_b32_e32 v34, v24
	v_pk_add_f32 v[26:27], v[34:35], v[16:17]
	v_mov_b32_e32 v28, v27
	v_pk_add_f32 v[28:29], v[26:27], v[28:29]
	v_pk_add_f32 v[22:23], v[22:23], v[28:29]
	v_mov_b32_e32 v25, v31
	v_mov_b32_e32 v27, v22
	v_pk_add_f32 v[30:31], v[26:27], v[24:25] neg_lo:[0,1] neg_hi:[0,1]
	v_mov_b32_e32 v17, v28
	v_sub_f32_e32 v19, v26, v30
	v_pk_add_f32 v[16:17], v[16:17], v[30:31] neg_lo:[0,1] neg_hi:[0,1]
	v_sub_f32_e32 v19, v24, v19
	v_add_f32_e32 v16, v16, v19
	v_add_f32_e32 v16, v16, v17
	;; [unrolled: 1-line block ×3, first 2 shown]
	v_sub_f32_e32 v19, v17, v22
	v_sub_f32_e32 v16, v16, v19
	v_mul_f32_e32 v19, v21, v17
	v_fma_f32 v17, v21, v17, -v19
	v_fmac_f32_e32 v17, v21, v16
	s_movk_i32 s16, 0x204
	v_add_f32_e32 v16, v19, v17
	v_cmp_class_f32_e64 s[4:5], v19, s16
	v_sub_f32_e32 v22, v16, v19
	v_cndmask_b32_e64 v19, v16, v19, s[4:5]
	s_mov_b32 s18, 0x42b17218
	v_mov_b32_e32 v16, 0x37000000
	v_cmp_eq_f32_e64 s[4:5], s18, v19
	v_sub_f32_e32 v17, v17, v22
	v_cndmask_b32_e64 v22, 0, v16, s[4:5]
	v_sub_f32_e32 v23, v19, v22
	s_mov_b32 s19, 0x3fb8aa3b
	v_mul_f32_e32 v24, 0x3fb8aa3b, v23
	v_fma_f32 v25, v23, s19, -v24
	v_rndne_f32_e32 v26, v24
	v_fmac_f32_e32 v25, 0x32a5705f, v23
	v_sub_f32_e32 v24, v24, v26
	v_add_f32_e32 v24, v24, v25
	v_exp_f32_e32 v24, v24
	v_cvt_i32_f32_e32 v25, v26
	s_mov_b32 s17, 0x7f800000
	v_cmp_neq_f32_e64 s[4:5], |v19|, s17
	v_cndmask_b32_e64 v17, 0, v17, s[4:5]
	v_add_f32_e32 v19, v22, v17
	v_ldexp_f32 v17, v24, v25
	v_cmp_ngt_f32_e64 s[4:5], s22, v23
	v_cndmask_b32_e64 v22, 0, v17, s[4:5]
	v_mov_b32_e32 v17, 0x7f800000
	v_cmp_nlt_f32_e64 s[4:5], s18, v23
	v_cndmask_b32_e64 v22, v17, v22, s[4:5]
	v_fma_f32 v19, v22, v19, v22
	v_cmp_class_f32_e64 s[4:5], v22, s16
	v_trunc_f32_e32 v23, v21
	v_cndmask_b32_e64 v19, v19, v22, s[4:5]
	v_cndmask_b32_e64 v22, v18, 1.0, s[2:3]
	v_cmp_eq_f32_e64 s[2:3], v23, v21
	v_mul_f32_e32 v23, 0.5, v21
	v_trunc_f32_e32 v24, v23
	v_cmp_neq_f32_e64 s[4:5], v24, v23
	s_and_b64 s[4:5], s[2:3], s[4:5]
	v_cndmask_b32_e64 v23, 1.0, v22, s[4:5]
	s_brev_b32 s11, -2
	v_cmp_eq_f32_e64 s[0:1], 0, v18
	v_mov_b32_e32 v18, 0x7fc00000
	v_bfi_b32 v19, s11, v19, v23
	v_cndmask_b32_e64 v23, v18, v19, s[2:3]
	v_cmp_gt_f32_e64 s[2:3], 0, v22
	v_cndmask_b32_e64 v19, v19, v23, s[2:3]
	v_cndmask_b32_e64 v23, |v11|, 1.0, vcc
	v_cmp_neq_f32_e32 vcc, v21, v23
	v_cmp_gt_f32_e64 s[2:3], 1.0, v36
	s_xor_b64 s[2:3], vcc, s[2:3]
	v_cndmask_b32_e64 v24, v23, 0, s[2:3]
	v_cmp_eq_f32_e32 vcc, 1.0, v36
	v_cndmask_b32_e32 v24, v24, v36, vcc
	v_cmp_eq_f32_e32 vcc, s17, v23
	v_cndmask_b32_e32 v19, v19, v24, vcc
	v_cmp_gt_f32_e32 vcc, 0, v21
	v_cndmask_b32_e64 v23, v17, 0, vcc
	v_cndmask_b32_e64 v24, 0, v22, s[4:5]
	v_bfi_b32 v23, s11, v23, v24
	v_cmp_eq_f32_e32 vcc, s17, v36
	v_cndmask_b32_e32 v19, v19, v23, vcc
	v_cmp_o_f32_e32 vcc, v22, v21
	v_mul_lo_u32 v22, s21, v6
	v_mul_lo_u32 v23, s20, v20
	v_mad_u64_u32 v[20:21], s[2:3], s20, v6, 0
	v_add3_u32 v21, v21, v23, v22
	v_lshlrev_b64 v[20:21], 2, v[20:21]
	v_cndmask_b32_e32 v19, v18, v19, vcc
	s_ashr_i32 s11, s10, 31
	v_mov_b32_e32 v22, s9
	v_add_co_u32_e32 v6, vcc, s8, v20
	v_addc_co_u32_e32 v20, vcc, v22, v21, vcc
	s_lshl_b64 s[8:9], s[10:11], 2
	s_mov_b64 s[10:11], 0
	s_branch .LBB27_4
.LBB27_3:                               ;   in Loop: Header=BB27_4 Depth=1
	s_or_b64 exec, exec, s[12:13]
	v_add_co_u32_e32 v24, vcc, v6, v2
	v_addc_co_u32_e32 v25, vcc, v20, v3, vcc
	v_add_co_u32_e32 v26, vcc, v7, v2
	v_addc_co_u32_e32 v27, vcc, v8, v3, vcc
	v_xor_b32_e32 v21, 0x80000000, v22
	global_store_dword v[26:27], v22, off
	global_store_dword v[24:25], v21, off
	v_mov_b32_e32 v21, s9
	v_add_co_u32_e32 v4, vcc, s8, v4
	v_addc_co_u32_e32 v5, vcc, v5, v21, vcc
	v_cmp_ge_u64_e32 vcc, v[4:5], v[0:1]
	s_or_b64 s[10:11], vcc, s[10:11]
	v_add_co_u32_e32 v2, vcc, s8, v2
	v_addc_co_u32_e32 v3, vcc, v3, v21, vcc
	s_andn2_b64 exec, exec, s[10:11]
	s_cbranch_execz .LBB27_6
.LBB27_4:                               ; =>This Inner Loop Header: Depth=1
	v_add_co_u32_e32 v22, vcc, v9, v2
	v_addc_co_u32_e32 v23, vcc, v10, v3, vcc
	v_add_co_u32_e32 v24, vcc, v13, v2
	v_addc_co_u32_e32 v25, vcc, v14, v3, vcc
	global_load_dword v21, v[24:25], off
	global_load_dword v26, v[22:23], off
	v_mov_b32_e32 v22, 0
	s_waitcnt vmcnt(0)
	v_sub_f32_e32 v21, v21, v26
	v_cmp_eq_f32_e32 vcc, 0, v21
	s_and_b64 s[2:3], s[6:7], vcc
	s_or_b64 s[2:3], s[0:1], s[2:3]
	s_xor_b64 s[2:3], s[2:3], -1
	s_and_saveexec_b64 s[12:13], s[2:3]
	s_cbranch_execz .LBB27_3
; %bb.5:                                ;   in Loop: Header=BB27_4 Depth=1
	v_cmp_lt_f32_e32 vcc, 0, v21
	v_cndmask_b32_e64 v22, 0, 1, vcc
	v_cmp_gt_f32_e32 vcc, 0, v21
	v_cmp_eq_f32_e64 s[2:3], |v21|, 1.0
	v_subbrev_co_u32_e32 v22, vcc, 0, v22, vcc
	v_cndmask_b32_e64 v39, v11, 1.0, s[2:3]
	v_cmp_neq_f32_e32 vcc, 0, v39
	v_cndmask_b32_e64 v40, 1.0, |v21|, vcc
	v_frexp_mant_f32_e32 v21, v40
	v_cmp_gt_f32_e32 vcc, s14, v21
	v_cvt_f32_i32_e32 v38, v22
	v_cndmask_b32_e64 v22, 1.0, 2.0, vcc
	v_mul_f32_e32 v21, v21, v22
	v_add_f32_e32 v22, 1.0, v21
	v_rcp_f32_e32 v30, v22
	v_add_f32_e32 v23, -1.0, v22
	v_sub_f32_e32 v25, v21, v23
	v_add_f32_e32 v23, -1.0, v21
	v_mul_f32_e32 v21, v23, v30
	v_mul_f32_e32 v24, v22, v21
	v_fma_f32 v26, v21, v22, -v24
	v_fmac_f32_e32 v26, v21, v25
	v_add_f32_e32 v22, v24, v26
	v_sub_f32_e32 v25, v23, v22
	v_pk_add_f32 v[28:29], v[22:23], v[24:25] neg_lo:[0,1] neg_hi:[0,1]
	v_mov_b32_e32 v27, v22
	v_pk_add_f32 v[22:23], v[28:29], v[26:27] neg_lo:[0,1] neg_hi:[0,1]
	v_add_f32_e32 v22, v22, v23
	v_add_f32_e32 v22, v25, v22
	v_mul_f32_e32 v23, v30, v22
	v_add_f32_e32 v22, v21, v23
	v_sub_f32_e32 v21, v22, v21
	v_sub_f32_e32 v21, v23, v21
	v_mul_f32_e32 v23, v22, v22
	v_fma_f32 v25, v22, v22, -v23
	v_add_f32_e32 v24, v21, v21
	v_fmac_f32_e32 v25, v22, v24
	v_add_f32_e32 v24, v23, v25
	v_mov_b32_e32 v26, 0x3e91f4c4
	v_fmac_f32_e32 v26, 0x3e76c4e1, v24
	v_fma_f32 v26, v24, v26, v15
	v_sub_f32_e32 v23, v24, v23
	v_sub_f32_e32 v32, v25, v23
	v_mul_f32_e32 v23, v24, v26
	v_fma_f32 v25, v24, v26, -v23
	v_fmac_f32_e32 v25, v32, v26
	v_add_f32_e32 v26, v23, v25
	v_add_f32_e32 v27, 0x3f2aaaaa, v26
	v_sub_f32_e32 v23, v26, v23
	v_sub_f32_e32 v23, v25, v23
	v_add_f32_e32 v25, 0xbf2aaaaa, v27
	v_add_f32_e32 v23, 0x31739010, v23
	v_sub_f32_e32 v25, v26, v25
	v_pk_mul_f32 v[28:29], v[22:23], v[24:25]
	v_fma_f32 v26, v24, v22, -v28
	v_pk_add_f32 v[30:31], v[22:23], v[24:25]
	v_fmac_f32_e32 v26, v24, v21
	v_mov_b32_e32 v29, v31
	v_fmac_f32_e32 v26, v32, v22
	v_pk_add_f32 v[24:25], v[28:29], v[26:27]
	v_sub_f32_e32 v23, v24, v28
	v_sub_f32_e32 v23, v26, v23
	;; [unrolled: 1-line block ×3, first 2 shown]
	v_add_f32_e32 v30, v31, v26
	v_mov_b32_e32 v26, v25
	v_pk_mul_f32 v[26:27], v[24:25], v[26:27]
	v_cvt_f64_f32_e32 v[28:29], v40
	v_frexp_exp_i32_f64_e32 v27, v[28:29]
	v_subbrev_co_u32_e32 v27, vcc, 0, v27, vcc
	v_cvt_f32_i32_e32 v27, v27
	v_fma_f32 v28, v24, v25, -v26
	v_fmac_f32_e32 v28, v24, v30
	v_fmac_f32_e32 v28, v23, v25
	v_mul_f32_e32 v24, 0x3f317218, v27
	v_fma_f32 v30, v27, s15, -v24
	v_fmac_f32_e32 v30, 0xb102e308, v27
	v_ldexp_f32 v31, v22, 1
	v_add_f32_e32 v25, v26, v28
	v_pk_add_f32 v[22:23], v[24:25], v[30:31]
	v_mov_b32_e32 v32, v25
	v_mov_b32_e32 v33, v23
	;; [unrolled: 1-line block ×3, first 2 shown]
	v_pk_add_f32 v[26:27], v[32:33], v[26:27] neg_lo:[0,1] neg_hi:[0,1]
	v_mov_b32_e32 v29, v25
	v_ldexp_f32 v21, v21, 1
	v_pk_add_f32 v[26:27], v[28:29], v[26:27] neg_lo:[0,1] neg_hi:[0,1]
	v_add_f32_e32 v21, v21, v26
	v_add_f32_e32 v25, v21, v27
	v_pk_add_f32 v[26:27], v[22:23], v[24:25] neg_lo:[0,1] neg_hi:[0,1]
	v_pk_add_f32 v[28:29], v[22:23], v[24:25]
	v_mov_b32_e32 v32, v26
	v_mov_b32_e32 v33, v29
	;; [unrolled: 1-line block ×3, first 2 shown]
	v_pk_add_f32 v[32:33], v[30:31], v[32:33]
	v_mov_b32_e32 v24, v33
	v_pk_add_f32 v[34:35], v[24:25], v[22:23] neg_lo:[0,1] neg_hi:[0,1]
	v_mov_b32_e32 v21, v34
	v_mov_b32_e32 v32, v29
	;; [unrolled: 1-line block ×4, first 2 shown]
	v_pk_add_f32 v[26:27], v[30:31], v[26:27] neg_lo:[0,1] neg_hi:[0,1]
	v_pk_add_f32 v[36:37], v[28:29], v[20:21] neg_lo:[0,1] neg_hi:[0,1]
	v_pk_add_f32 v[22:23], v[32:33], v[22:23] neg_lo:[0,1] neg_hi:[0,1]
	v_mov_b32_e32 v30, v25
	v_pk_add_f32 v[22:23], v[30:31], v[22:23] neg_lo:[0,1] neg_hi:[0,1]
	v_mov_b32_e32 v36, v26
	v_pk_add_f32 v[28:29], v[36:37], v[22:23]
	v_mov_b32_e32 v30, v29
	v_pk_add_f32 v[30:31], v[28:29], v[30:31]
	v_pk_add_f32 v[24:25], v[24:25], v[30:31]
	v_mov_b32_e32 v27, v33
	v_mov_b32_e32 v29, v24
	v_pk_add_f32 v[32:33], v[28:29], v[26:27] neg_lo:[0,1] neg_hi:[0,1]
	v_mov_b32_e32 v23, v30
	v_sub_f32_e32 v21, v28, v32
	v_pk_add_f32 v[22:23], v[22:23], v[32:33] neg_lo:[0,1] neg_hi:[0,1]
	v_sub_f32_e32 v21, v26, v21
	v_add_f32_e32 v21, v22, v21
	v_add_f32_e32 v21, v21, v23
	;; [unrolled: 1-line block ×3, first 2 shown]
	v_sub_f32_e32 v23, v22, v24
	v_sub_f32_e32 v21, v21, v23
	v_mul_f32_e32 v23, v39, v22
	v_fma_f32 v22, v39, v22, -v23
	v_fmac_f32_e32 v22, v39, v21
	v_add_f32_e32 v21, v23, v22
	v_cmp_class_f32_e64 vcc, v23, s16
	v_sub_f32_e32 v24, v21, v23
	v_cndmask_b32_e32 v21, v21, v23, vcc
	v_cmp_eq_f32_e32 vcc, s18, v21
	v_cndmask_b32_e32 v23, 0, v16, vcc
	v_sub_f32_e32 v22, v22, v24
	v_sub_f32_e32 v24, v21, v23
	v_mul_f32_e32 v25, 0x3fb8aa3b, v24
	v_fma_f32 v26, v24, s19, -v25
	v_rndne_f32_e32 v27, v25
	v_fmac_f32_e32 v26, 0x32a5705f, v24
	v_sub_f32_e32 v25, v25, v27
	v_add_f32_e32 v25, v25, v26
	v_exp_f32_e32 v25, v25
	v_cvt_i32_f32_e32 v26, v27
	v_cmp_neq_f32_e64 vcc, |v21|, s17
	v_cndmask_b32_e32 v21, 0, v22, vcc
	v_cmp_ngt_f32_e32 vcc, s22, v24
	v_ldexp_f32 v22, v25, v26
	v_cndmask_b32_e32 v22, 0, v22, vcc
	v_cmp_nlt_f32_e32 vcc, s18, v24
	v_add_f32_e32 v21, v23, v21
	v_cndmask_b32_e32 v22, v17, v22, vcc
	v_fma_f32 v21, v22, v21, v22
	v_cmp_class_f32_e64 vcc, v22, s16
	v_cndmask_b32_e32 v21, v21, v22, vcc
	v_cndmask_b32_e64 v22, |v11|, 1.0, s[2:3]
	v_cmp_neq_f32_e32 vcc, v39, v22
	v_cmp_gt_f32_e64 s[2:3], 1.0, v40
	s_xor_b64 s[2:3], vcc, s[2:3]
	v_cndmask_b32_e64 v23, v22, 0, s[2:3]
	v_cmp_eq_f32_e32 vcc, 1.0, v40
	v_cndmask_b32_e32 v23, v23, v40, vcc
	v_cmp_eq_f32_e32 vcc, s17, v22
	v_cmp_eq_f32_e64 s[2:3], 0, v40
	v_cmp_gt_f32_e64 s[4:5], 0, v39
	v_cndmask_b32_e64 v21, |v21|, v23, vcc
	v_cmp_eq_f32_e32 vcc, s17, v40
	s_xor_b64 s[4:5], s[4:5], s[2:3]
	v_cndmask_b32_e64 v22, v17, 0, s[4:5]
	s_or_b64 vcc, vcc, s[2:3]
	v_cndmask_b32_e32 v21, v21, v22, vcc
	v_cmp_o_f32_e32 vcc, v40, v39
	v_cndmask_b32_e32 v21, v18, v21, vcc
	v_mul_f32_e32 v21, v21, v38
	v_mul_f32_e32 v21, v12, v21
	v_div_scale_f32 v22, s[2:3], v19, v19, v21
	v_rcp_f32_e32 v23, v22
	v_fma_f32 v24, -v22, v23, 1.0
	v_fmac_f32_e32 v23, v24, v23
	v_div_scale_f32 v24, vcc, v21, v19, v21
	v_mul_f32_e32 v25, v24, v23
	v_fma_f32 v26, -v22, v25, v24
	v_fmac_f32_e32 v25, v26, v23
	v_fma_f32 v22, -v22, v25, v24
	v_div_fmas_f32 v22, v22, v23, v25
	v_div_fixup_f32 v22, v22, v19, v21
	s_branch .LBB27_3
.LBB27_6:
	s_endpgm
	.section	.rodata,"a",@progbits
	.p2align	6, 0x0
	.amdhsa_kernel _ZN2at6native12_GLOBAL__N_131pdist_backward_kernel_cuda_implIfNS1_5distsIfE6lt_twoEEEvPT_PKS6_S9_S9_llllS6_dd
		.amdhsa_group_segment_fixed_size 0
		.amdhsa_private_segment_fixed_size 0
		.amdhsa_kernarg_size 344
		.amdhsa_user_sgpr_count 6
		.amdhsa_user_sgpr_private_segment_buffer 1
		.amdhsa_user_sgpr_dispatch_ptr 0
		.amdhsa_user_sgpr_queue_ptr 0
		.amdhsa_user_sgpr_kernarg_segment_ptr 1
		.amdhsa_user_sgpr_dispatch_id 0
		.amdhsa_user_sgpr_flat_scratch_init 0
		.amdhsa_user_sgpr_kernarg_preload_length 0
		.amdhsa_user_sgpr_kernarg_preload_offset 0
		.amdhsa_user_sgpr_private_segment_size 0
		.amdhsa_uses_dynamic_stack 0
		.amdhsa_system_sgpr_private_segment_wavefront_offset 0
		.amdhsa_system_sgpr_workgroup_id_x 1
		.amdhsa_system_sgpr_workgroup_id_y 1
		.amdhsa_system_sgpr_workgroup_id_z 0
		.amdhsa_system_sgpr_workgroup_info 0
		.amdhsa_system_vgpr_workitem_id 1
		.amdhsa_next_free_vgpr 41
		.amdhsa_next_free_sgpr 26
		.amdhsa_accum_offset 44
		.amdhsa_reserve_vcc 1
		.amdhsa_reserve_flat_scratch 0
		.amdhsa_float_round_mode_32 0
		.amdhsa_float_round_mode_16_64 0
		.amdhsa_float_denorm_mode_32 3
		.amdhsa_float_denorm_mode_16_64 3
		.amdhsa_dx10_clamp 1
		.amdhsa_ieee_mode 1
		.amdhsa_fp16_overflow 0
		.amdhsa_tg_split 0
		.amdhsa_exception_fp_ieee_invalid_op 0
		.amdhsa_exception_fp_denorm_src 0
		.amdhsa_exception_fp_ieee_div_zero 0
		.amdhsa_exception_fp_ieee_overflow 0
		.amdhsa_exception_fp_ieee_underflow 0
		.amdhsa_exception_fp_ieee_inexact 0
		.amdhsa_exception_int_div_zero 0
	.end_amdhsa_kernel
	.section	.text._ZN2at6native12_GLOBAL__N_131pdist_backward_kernel_cuda_implIfNS1_5distsIfE6lt_twoEEEvPT_PKS6_S9_S9_llllS6_dd,"axG",@progbits,_ZN2at6native12_GLOBAL__N_131pdist_backward_kernel_cuda_implIfNS1_5distsIfE6lt_twoEEEvPT_PKS6_S9_S9_llllS6_dd,comdat
.Lfunc_end27:
	.size	_ZN2at6native12_GLOBAL__N_131pdist_backward_kernel_cuda_implIfNS1_5distsIfE6lt_twoEEEvPT_PKS6_S9_S9_llllS6_dd, .Lfunc_end27-_ZN2at6native12_GLOBAL__N_131pdist_backward_kernel_cuda_implIfNS1_5distsIfE6lt_twoEEEvPT_PKS6_S9_S9_llllS6_dd
                                        ; -- End function
	.section	.AMDGPU.csdata,"",@progbits
; Kernel info:
; codeLenInByte = 3196
; NumSgprs: 30
; NumVgprs: 41
; NumAgprs: 0
; TotalNumVgprs: 41
; ScratchSize: 0
; MemoryBound: 0
; FloatMode: 240
; IeeeMode: 1
; LDSByteSize: 0 bytes/workgroup (compile time only)
; SGPRBlocks: 3
; VGPRBlocks: 5
; NumSGPRsForWavesPerEU: 30
; NumVGPRsForWavesPerEU: 41
; AccumOffset: 44
; Occupancy: 8
; WaveLimiterHint : 0
; COMPUTE_PGM_RSRC2:SCRATCH_EN: 0
; COMPUTE_PGM_RSRC2:USER_SGPR: 6
; COMPUTE_PGM_RSRC2:TRAP_HANDLER: 0
; COMPUTE_PGM_RSRC2:TGID_X_EN: 1
; COMPUTE_PGM_RSRC2:TGID_Y_EN: 1
; COMPUTE_PGM_RSRC2:TGID_Z_EN: 0
; COMPUTE_PGM_RSRC2:TIDIG_COMP_CNT: 1
; COMPUTE_PGM_RSRC3_GFX90A:ACCUM_OFFSET: 10
; COMPUTE_PGM_RSRC3_GFX90A:TG_SPLIT: 0
	.section	.text._ZN2at6native12_GLOBAL__N_131pdist_backward_kernel_cuda_implIfNS1_5distsIfE3twoEEEvPT_PKS6_S9_S9_llllS6_dd,"axG",@progbits,_ZN2at6native12_GLOBAL__N_131pdist_backward_kernel_cuda_implIfNS1_5distsIfE3twoEEEvPT_PKS6_S9_S9_llllS6_dd,comdat
	.globl	_ZN2at6native12_GLOBAL__N_131pdist_backward_kernel_cuda_implIfNS1_5distsIfE3twoEEEvPT_PKS6_S9_S9_llllS6_dd ; -- Begin function _ZN2at6native12_GLOBAL__N_131pdist_backward_kernel_cuda_implIfNS1_5distsIfE3twoEEEvPT_PKS6_S9_S9_llllS6_dd
	.p2align	8
	.type	_ZN2at6native12_GLOBAL__N_131pdist_backward_kernel_cuda_implIfNS1_5distsIfE3twoEEEvPT_PKS6_S9_S9_llllS6_dd,@function
_ZN2at6native12_GLOBAL__N_131pdist_backward_kernel_cuda_implIfNS1_5distsIfE3twoEEEvPT_PKS6_S9_S9_llllS6_dd: ; @_ZN2at6native12_GLOBAL__N_131pdist_backward_kernel_cuda_implIfNS1_5distsIfE3twoEEEvPT_PKS6_S9_S9_llllS6_dd
; %bb.0:
	s_load_dwordx16 s[8:23], s[4:5], 0x0
	s_load_dword s2, s[4:5], 0x64
	s_add_u32 s0, s4, 0x58
	s_addc_u32 s1, s5, 0
	v_and_b32_e32 v2, 0x3ff, v0
	v_mov_b32_e32 v3, 0
	s_waitcnt lgkmcnt(0)
	s_and_b32 s3, s2, 0xffff
	v_mov_b32_e32 v1, s6
	v_mad_u64_u32 v[6:7], s[24:25], s3, v1, v[2:3]
	v_cmp_gt_i64_e32 vcc, s[22:23], v[6:7]
	s_and_saveexec_b64 s[22:23], vcc
	s_cbranch_execz .LBB28_6
; %bb.1:
	s_lshr_b32 s2, s2, 16
	s_mul_i32 s7, s7, s2
	v_bfe_u32 v0, v0, 10, 10
	v_add_u32_e32 v2, s7, v0
	v_ashrrev_i32_e32 v3, 31, v2
	v_cmp_gt_i64_e32 vcc, s[20:21], v[2:3]
	s_and_b64 exec, exec, vcc
	s_cbranch_execz .LBB28_6
; %bb.2:
	s_load_dwordx4 s[4:7], s[4:5], 0x48
	v_lshlrev_b64 v[0:1], 1, v[6:7]
	v_cvt_f64_u32_e32 v[4:5], v1
	v_ldexp_f64 v[4:5], v[4:5], 32
	v_cvt_f64_u32_e32 v[0:1], v0
	v_add_f64 v[0:1], v[4:5], v[0:1]
	s_waitcnt lgkmcnt(0)
	v_add_f64 v[0:1], s[6:7], -v[0:1]
	s_mov_b32 s6, 0
	s_brev_b32 s7, 8
	v_cmp_gt_f64_e32 vcc, s[6:7], v[0:1]
	v_cndmask_b32_e64 v4, 0, 1, vcc
	v_lshlrev_b32_e32 v4, 8, v4
	v_ldexp_f64 v[0:1], v[0:1], v4
	v_rsq_f64_e32 v[4:5], v[0:1]
	s_load_dword s3, s[0:1], 0x4
	s_movk_i32 s0, 0xffe0
	v_lshlrev_b64 v[2:3], 2, v[2:3]
	v_mul_f64 v[8:9], v[0:1], v[4:5]
	v_mul_f64 v[4:5], v[4:5], 0.5
	v_fma_f64 v[10:11], -v[4:5], v[8:9], 0.5
	v_fmac_f64_e32 v[8:9], v[8:9], v[10:11]
	v_fma_f64 v[12:13], -v[8:9], v[8:9], v[0:1]
	v_fmac_f64_e32 v[4:5], v[4:5], v[10:11]
	v_fmac_f64_e32 v[8:9], v[12:13], v[4:5]
	v_fma_f64 v[10:11], -v[8:9], v[8:9], v[0:1]
	v_fmac_f64_e32 v[8:9], v[10:11], v[4:5]
	v_mov_b32_e32 v4, 0xffffff80
	v_cndmask_b32_e32 v4, 0, v4, vcc
	v_ldexp_f64 v[4:5], v[8:9], v4
	v_mov_b32_e32 v8, 0x260
	v_cmp_class_f64_e32 vcc, v[0:1], v8
	v_cndmask_b32_e32 v1, v5, v1, vcc
	v_cndmask_b32_e32 v0, v4, v0, vcc
	v_add_f64 v[0:1], s[4:5], -v[0:1]
	v_trunc_f64_e32 v[0:1], v[0:1]
	v_ldexp_f64 v[4:5], v[0:1], s0
	v_floor_f64_e32 v[4:5], v[4:5]
	v_fmac_f64_e32 v[0:1], 0xc1f00000, v[4:5]
	v_cvt_u32_f64_e32 v14, v[0:1]
	v_cvt_i32_f64_e32 v15, v[4:5]
	v_mul_lo_u32 v4, v7, s16
	v_mul_lo_u32 v5, v6, s17
	v_mad_u64_u32 v[0:1], s[0:1], v6, s16, 0
	v_add3_u32 v1, v1, v5, v4
	v_lshlrev_b64 v[0:1], 2, v[0:1]
	v_mov_b32_e32 v4, s11
	v_add_co_u32_e32 v0, vcc, s10, v0
	v_addc_co_u32_e32 v1, vcc, v4, v1, vcc
	global_load_dword v8, v[0:1], off
	v_lshlrev_b64 v[0:1], 2, v[6:7]
	v_mov_b32_e32 v4, s15
	v_add_co_u32_e32 v0, vcc, s14, v0
	v_addc_co_u32_e32 v1, vcc, v4, v1, vcc
	global_load_dword v9, v[0:1], off
	v_mul_lo_u32 v4, v14, s21
	v_mad_u64_u32 v[0:1], s[0:1], v14, s20, 0
	v_mul_lo_u32 v5, v15, s20
	v_add3_u32 v1, v1, v4, v5
	v_lshlrev_b64 v[0:1], 2, v[0:1]
	v_mov_b32_e32 v4, s13
	v_add_co_u32_e32 v10, vcc, s12, v0
	v_addc_co_u32_e32 v11, vcc, v4, v1, vcc
	s_lshl_b64 s[0:1], s[20:21], 2
	v_mov_b32_e32 v1, s1
	v_add_co_u32_e32 v0, vcc, s0, v10
	v_addc_co_u32_e32 v1, vcc, v11, v1, vcc
	v_add_co_u32_e32 v4, vcc, v10, v2
	v_addc_co_u32_e32 v5, vcc, v11, v3, vcc
	;; [unrolled: 2-line block ×3, first 2 shown]
	v_mul_lo_u32 v16, v19, v14
	v_mul_hi_u32 v12, v18, v14
	v_mul_lo_u32 v17, v18, v15
	v_add3_u32 v12, v12, v17, v16
	v_mov_b32_e32 v13, 0
	v_lshrrev_b32_e32 v12, 31, v12
	v_mad_u64_u32 v[12:13], s[0:1], v18, v14, v[12:13]
	v_add3_u32 v13, v16, v13, v17
	v_mul_lo_u32 v20, v14, s19
	v_mad_u64_u32 v[16:17], s[0:1], v14, s18, 0
	v_mul_lo_u32 v21, v15, s18
	v_add3_u32 v17, v17, v20, v21
	v_sub_co_u32_e32 v6, vcc, v6, v16
	v_ashrrev_i64 v[12:13], 1, v[12:13]
	v_subb_co_u32_e32 v7, vcc, v7, v17, vcc
	v_add_co_u32_e32 v6, vcc, v12, v6
	v_addc_co_u32_e32 v7, vcc, v13, v7, vcc
	v_add_co_u32_e32 v12, vcc, v18, v6
	v_addc_co_u32_e32 v13, vcc, v19, v7, vcc
	v_mov_b32_e32 v16, s19
	v_sub_co_u32_e32 v17, vcc, s18, v14
	v_subb_co_u32_e32 v16, vcc, v16, v15, vcc
	v_add_co_u32_e32 v18, vcc, -2, v17
	v_addc_co_u32_e32 v19, vcc, -1, v16, vcc
	v_mad_u64_u32 v[16:17], s[0:1], v18, s18, v[12:13]
	v_mul_lo_u32 v18, v18, s19
	v_mul_lo_u32 v19, v19, s18
	v_add3_u32 v17, v19, v17, v18
	v_mul_lo_u32 v18, v6, s19
	v_mul_lo_u32 v19, v7, s18
	v_mad_u64_u32 v[6:7], s[0:1], v6, s18, v[14:15]
	v_add3_u32 v7, v19, v7, v18
	v_mul_lo_u32 v14, v7, s20
	v_mul_lo_u32 v15, v6, s21
	v_mad_u64_u32 v[6:7], s[0:1], v6, s20, 0
	v_add3_u32 v7, v7, v15, v14
	v_lshlrev_b64 v[6:7], 2, v[6:7]
	v_mov_b32_e32 v14, s9
	v_add_co_u32_e32 v6, vcc, s8, v6
	v_addc_co_u32_e32 v7, vcc, v14, v7, vcc
	v_mul_lo_u32 v14, v13, s20
	v_mul_lo_u32 v15, v12, s21
	v_mad_u64_u32 v[12:13], s[0:1], v12, s20, 0
	v_add3_u32 v13, v13, v15, v14
	v_lshlrev_b64 v[12:13], 2, v[12:13]
	v_mov_b32_e32 v14, s13
	v_add_co_u32_e32 v12, vcc, s12, v12
	v_addc_co_u32_e32 v13, vcc, v14, v13, vcc
	v_mul_lo_u32 v18, s21, v16
	v_mul_lo_u32 v17, s20, v17
	v_mad_u64_u32 v[14:15], s[4:5], s20, v16, 0
	v_add3_u32 v15, v15, v17, v18
	s_waitcnt lgkmcnt(0)
	s_mul_i32 s2, s3, s2
	v_lshlrev_b64 v[14:15], 2, v[14:15]
	s_ashr_i32 s3, s2, 31
	v_mov_b32_e32 v16, s9
	v_add_co_u32_e32 v14, vcc, s8, v14
	s_waitcnt vmcnt(0)
	v_cmp_neq_f32_e64 s[0:1], 0, v9
	v_addc_co_u32_e32 v15, vcc, v16, v15, vcc
	s_lshl_b64 s[2:3], s[2:3], 2
	s_mov_b64 s[4:5], 0
	s_branch .LBB28_4
.LBB28_3:                               ;   in Loop: Header=BB28_4 Depth=1
	s_or_b64 exec, exec, s[6:7]
	v_add_co_u32_e32 v18, vcc, v14, v2
	v_addc_co_u32_e32 v19, vcc, v15, v3, vcc
	v_add_co_u32_e32 v20, vcc, v6, v2
	v_addc_co_u32_e32 v21, vcc, v7, v3, vcc
	global_store_dword v[20:21], v16, off
	v_xor_b32_e32 v16, 0x80000000, v16
	global_store_dword v[18:19], v16, off
	v_mov_b32_e32 v16, s3
	v_add_co_u32_e32 v4, vcc, s2, v4
	v_addc_co_u32_e32 v5, vcc, v5, v16, vcc
	v_cmp_ge_u64_e32 vcc, v[4:5], v[0:1]
	s_or_b64 s[4:5], vcc, s[4:5]
	v_add_co_u32_e32 v2, vcc, s2, v2
	v_addc_co_u32_e32 v3, vcc, v3, v16, vcc
	s_andn2_b64 exec, exec, s[4:5]
	s_cbranch_execz .LBB28_6
.LBB28_4:                               ; =>This Inner Loop Header: Depth=1
	v_mov_b32_e32 v16, 0
	s_and_saveexec_b64 s[6:7], s[0:1]
	s_cbranch_execz .LBB28_3
; %bb.5:                                ;   in Loop: Header=BB28_4 Depth=1
	v_add_co_u32_e32 v16, vcc, v12, v2
	v_addc_co_u32_e32 v17, vcc, v13, v3, vcc
	v_add_co_u32_e32 v18, vcc, v10, v2
	v_addc_co_u32_e32 v19, vcc, v11, v3, vcc
	global_load_dword v20, v[18:19], off
	global_load_dword v21, v[16:17], off
	s_waitcnt vmcnt(0)
	v_sub_f32_e32 v16, v20, v21
	v_mul_f32_e32 v16, v8, v16
	v_div_scale_f32 v17, s[8:9], v9, v9, v16
	v_rcp_f32_e32 v18, v17
	v_div_scale_f32 v19, vcc, v16, v9, v16
	v_fma_f32 v20, -v17, v18, 1.0
	v_fmac_f32_e32 v18, v20, v18
	v_mul_f32_e32 v20, v19, v18
	v_fma_f32 v21, -v17, v20, v19
	v_fmac_f32_e32 v20, v21, v18
	v_fma_f32 v17, -v17, v20, v19
	v_div_fmas_f32 v17, v17, v18, v20
	v_div_fixup_f32 v16, v17, v9, v16
	s_branch .LBB28_3
.LBB28_6:
	s_endpgm
	.section	.rodata,"a",@progbits
	.p2align	6, 0x0
	.amdhsa_kernel _ZN2at6native12_GLOBAL__N_131pdist_backward_kernel_cuda_implIfNS1_5distsIfE3twoEEEvPT_PKS6_S9_S9_llllS6_dd
		.amdhsa_group_segment_fixed_size 0
		.amdhsa_private_segment_fixed_size 0
		.amdhsa_kernarg_size 344
		.amdhsa_user_sgpr_count 6
		.amdhsa_user_sgpr_private_segment_buffer 1
		.amdhsa_user_sgpr_dispatch_ptr 0
		.amdhsa_user_sgpr_queue_ptr 0
		.amdhsa_user_sgpr_kernarg_segment_ptr 1
		.amdhsa_user_sgpr_dispatch_id 0
		.amdhsa_user_sgpr_flat_scratch_init 0
		.amdhsa_user_sgpr_kernarg_preload_length 0
		.amdhsa_user_sgpr_kernarg_preload_offset 0
		.amdhsa_user_sgpr_private_segment_size 0
		.amdhsa_uses_dynamic_stack 0
		.amdhsa_system_sgpr_private_segment_wavefront_offset 0
		.amdhsa_system_sgpr_workgroup_id_x 1
		.amdhsa_system_sgpr_workgroup_id_y 1
		.amdhsa_system_sgpr_workgroup_id_z 0
		.amdhsa_system_sgpr_workgroup_info 0
		.amdhsa_system_vgpr_workitem_id 1
		.amdhsa_next_free_vgpr 22
		.amdhsa_next_free_sgpr 26
		.amdhsa_accum_offset 24
		.amdhsa_reserve_vcc 1
		.amdhsa_reserve_flat_scratch 0
		.amdhsa_float_round_mode_32 0
		.amdhsa_float_round_mode_16_64 0
		.amdhsa_float_denorm_mode_32 3
		.amdhsa_float_denorm_mode_16_64 3
		.amdhsa_dx10_clamp 1
		.amdhsa_ieee_mode 1
		.amdhsa_fp16_overflow 0
		.amdhsa_tg_split 0
		.amdhsa_exception_fp_ieee_invalid_op 0
		.amdhsa_exception_fp_denorm_src 0
		.amdhsa_exception_fp_ieee_div_zero 0
		.amdhsa_exception_fp_ieee_overflow 0
		.amdhsa_exception_fp_ieee_underflow 0
		.amdhsa_exception_fp_ieee_inexact 0
		.amdhsa_exception_int_div_zero 0
	.end_amdhsa_kernel
	.section	.text._ZN2at6native12_GLOBAL__N_131pdist_backward_kernel_cuda_implIfNS1_5distsIfE3twoEEEvPT_PKS6_S9_S9_llllS6_dd,"axG",@progbits,_ZN2at6native12_GLOBAL__N_131pdist_backward_kernel_cuda_implIfNS1_5distsIfE3twoEEEvPT_PKS6_S9_S9_llllS6_dd,comdat
.Lfunc_end28:
	.size	_ZN2at6native12_GLOBAL__N_131pdist_backward_kernel_cuda_implIfNS1_5distsIfE3twoEEEvPT_PKS6_S9_S9_llllS6_dd, .Lfunc_end28-_ZN2at6native12_GLOBAL__N_131pdist_backward_kernel_cuda_implIfNS1_5distsIfE3twoEEEvPT_PKS6_S9_S9_llllS6_dd
                                        ; -- End function
	.section	.AMDGPU.csdata,"",@progbits
; Kernel info:
; codeLenInByte = 1140
; NumSgprs: 30
; NumVgprs: 22
; NumAgprs: 0
; TotalNumVgprs: 22
; ScratchSize: 0
; MemoryBound: 0
; FloatMode: 240
; IeeeMode: 1
; LDSByteSize: 0 bytes/workgroup (compile time only)
; SGPRBlocks: 3
; VGPRBlocks: 2
; NumSGPRsForWavesPerEU: 30
; NumVGPRsForWavesPerEU: 22
; AccumOffset: 24
; Occupancy: 8
; WaveLimiterHint : 0
; COMPUTE_PGM_RSRC2:SCRATCH_EN: 0
; COMPUTE_PGM_RSRC2:USER_SGPR: 6
; COMPUTE_PGM_RSRC2:TRAP_HANDLER: 0
; COMPUTE_PGM_RSRC2:TGID_X_EN: 1
; COMPUTE_PGM_RSRC2:TGID_Y_EN: 1
; COMPUTE_PGM_RSRC2:TGID_Z_EN: 0
; COMPUTE_PGM_RSRC2:TIDIG_COMP_CNT: 1
; COMPUTE_PGM_RSRC3_GFX90A:ACCUM_OFFSET: 5
; COMPUTE_PGM_RSRC3_GFX90A:TG_SPLIT: 0
	.section	.text._ZN2at6native12_GLOBAL__N_131pdist_backward_kernel_cuda_implIfNS1_5distsIfE3infEEEvPT_PKS6_S9_S9_llllS6_dd,"axG",@progbits,_ZN2at6native12_GLOBAL__N_131pdist_backward_kernel_cuda_implIfNS1_5distsIfE3infEEEvPT_PKS6_S9_S9_llllS6_dd,comdat
	.globl	_ZN2at6native12_GLOBAL__N_131pdist_backward_kernel_cuda_implIfNS1_5distsIfE3infEEEvPT_PKS6_S9_S9_llllS6_dd ; -- Begin function _ZN2at6native12_GLOBAL__N_131pdist_backward_kernel_cuda_implIfNS1_5distsIfE3infEEEvPT_PKS6_S9_S9_llllS6_dd
	.p2align	8
	.type	_ZN2at6native12_GLOBAL__N_131pdist_backward_kernel_cuda_implIfNS1_5distsIfE3infEEEvPT_PKS6_S9_S9_llllS6_dd,@function
_ZN2at6native12_GLOBAL__N_131pdist_backward_kernel_cuda_implIfNS1_5distsIfE3infEEEvPT_PKS6_S9_S9_llllS6_dd: ; @_ZN2at6native12_GLOBAL__N_131pdist_backward_kernel_cuda_implIfNS1_5distsIfE3infEEEvPT_PKS6_S9_S9_llllS6_dd
; %bb.0:
	s_load_dwordx16 s[8:23], s[4:5], 0x0
	s_load_dword s2, s[4:5], 0x64
	s_add_u32 s0, s4, 0x58
	s_addc_u32 s1, s5, 0
	v_and_b32_e32 v2, 0x3ff, v0
	v_mov_b32_e32 v3, 0
	s_waitcnt lgkmcnt(0)
	s_and_b32 s3, s2, 0xffff
	v_mov_b32_e32 v1, s6
	v_mad_u64_u32 v[6:7], s[24:25], s3, v1, v[2:3]
	v_cmp_gt_i64_e32 vcc, s[22:23], v[6:7]
	s_and_saveexec_b64 s[22:23], vcc
	s_cbranch_execz .LBB29_4
; %bb.1:
	s_lshr_b32 s2, s2, 16
	s_mul_i32 s7, s7, s2
	v_bfe_u32 v0, v0, 10, 10
	v_add_u32_e32 v2, s7, v0
	v_ashrrev_i32_e32 v3, 31, v2
	v_cmp_gt_i64_e32 vcc, s[20:21], v[2:3]
	s_and_b64 exec, exec, vcc
	s_cbranch_execz .LBB29_4
; %bb.2:
	s_load_dwordx4 s[4:7], s[4:5], 0x48
	v_lshlrev_b64 v[0:1], 1, v[6:7]
	v_cvt_f64_u32_e32 v[4:5], v1
	v_ldexp_f64 v[4:5], v[4:5], 32
	v_cvt_f64_u32_e32 v[0:1], v0
	v_add_f64 v[0:1], v[4:5], v[0:1]
	s_waitcnt lgkmcnt(0)
	v_add_f64 v[0:1], s[6:7], -v[0:1]
	s_mov_b32 s6, 0
	s_brev_b32 s7, 8
	v_cmp_gt_f64_e32 vcc, s[6:7], v[0:1]
	v_cndmask_b32_e64 v4, 0, 1, vcc
	v_lshlrev_b32_e32 v4, 8, v4
	v_ldexp_f64 v[0:1], v[0:1], v4
	v_rsq_f64_e32 v[4:5], v[0:1]
	s_load_dword s3, s[0:1], 0x4
	s_movk_i32 s0, 0xffe0
	v_lshlrev_b64 v[2:3], 2, v[2:3]
	v_mul_f64 v[8:9], v[0:1], v[4:5]
	v_mul_f64 v[4:5], v[4:5], 0.5
	v_fma_f64 v[10:11], -v[4:5], v[8:9], 0.5
	v_fmac_f64_e32 v[8:9], v[8:9], v[10:11]
	v_fma_f64 v[12:13], -v[8:9], v[8:9], v[0:1]
	v_fmac_f64_e32 v[4:5], v[4:5], v[10:11]
	v_fmac_f64_e32 v[8:9], v[12:13], v[4:5]
	v_fma_f64 v[10:11], -v[8:9], v[8:9], v[0:1]
	v_fmac_f64_e32 v[8:9], v[10:11], v[4:5]
	v_mov_b32_e32 v4, 0xffffff80
	v_cndmask_b32_e32 v4, 0, v4, vcc
	v_ldexp_f64 v[4:5], v[8:9], v4
	v_mov_b32_e32 v8, 0x260
	v_cmp_class_f64_e32 vcc, v[0:1], v8
	v_cndmask_b32_e32 v1, v5, v1, vcc
	v_cndmask_b32_e32 v0, v4, v0, vcc
	v_add_f64 v[0:1], s[4:5], -v[0:1]
	v_trunc_f64_e32 v[0:1], v[0:1]
	v_ldexp_f64 v[4:5], v[0:1], s0
	v_floor_f64_e32 v[4:5], v[4:5]
	v_fmac_f64_e32 v[0:1], 0xc1f00000, v[4:5]
	v_cvt_u32_f64_e32 v14, v[0:1]
	v_cvt_i32_f64_e32 v15, v[4:5]
	v_mul_lo_u32 v4, v7, s16
	v_mul_lo_u32 v5, v6, s17
	v_mad_u64_u32 v[0:1], s[0:1], v6, s16, 0
	v_add3_u32 v1, v1, v5, v4
	v_lshlrev_b64 v[0:1], 2, v[0:1]
	v_mov_b32_e32 v4, s11
	v_add_co_u32_e32 v0, vcc, s10, v0
	v_addc_co_u32_e32 v1, vcc, v4, v1, vcc
	global_load_dword v8, v[0:1], off
	v_lshlrev_b64 v[0:1], 2, v[6:7]
	v_mov_b32_e32 v4, s15
	v_add_co_u32_e32 v0, vcc, s14, v0
	v_addc_co_u32_e32 v1, vcc, v4, v1, vcc
	global_load_dword v9, v[0:1], off
	v_mul_lo_u32 v4, v14, s21
	v_mad_u64_u32 v[0:1], s[0:1], v14, s20, 0
	v_mul_lo_u32 v5, v15, s20
	v_add3_u32 v1, v1, v4, v5
	v_lshlrev_b64 v[0:1], 2, v[0:1]
	v_mov_b32_e32 v4, s13
	v_add_co_u32_e32 v10, vcc, s12, v0
	v_addc_co_u32_e32 v11, vcc, v4, v1, vcc
	s_lshl_b64 s[0:1], s[20:21], 2
	v_mov_b32_e32 v1, s1
	v_add_co_u32_e32 v0, vcc, s0, v10
	v_addc_co_u32_e32 v1, vcc, v11, v1, vcc
	v_add_co_u32_e32 v4, vcc, v10, v2
	v_addc_co_u32_e32 v5, vcc, v11, v3, vcc
	;; [unrolled: 2-line block ×3, first 2 shown]
	v_mul_lo_u32 v16, v19, v14
	v_mul_hi_u32 v12, v18, v14
	v_mul_lo_u32 v17, v18, v15
	v_add3_u32 v12, v12, v17, v16
	v_mov_b32_e32 v13, 0
	v_lshrrev_b32_e32 v12, 31, v12
	s_waitcnt lgkmcnt(0)
	s_mul_i32 s0, s3, s2
	v_mad_u64_u32 v[12:13], s[2:3], v18, v14, v[12:13]
	v_add3_u32 v13, v16, v13, v17
	v_mul_lo_u32 v20, v14, s19
	v_mad_u64_u32 v[16:17], s[2:3], v14, s18, 0
	v_mul_lo_u32 v21, v15, s18
	v_add3_u32 v17, v17, v20, v21
	v_sub_co_u32_e32 v6, vcc, v6, v16
	v_ashrrev_i64 v[12:13], 1, v[12:13]
	v_subb_co_u32_e32 v7, vcc, v7, v17, vcc
	v_add_co_u32_e32 v6, vcc, v12, v6
	v_addc_co_u32_e32 v7, vcc, v13, v7, vcc
	v_add_co_u32_e32 v12, vcc, v18, v6
	v_addc_co_u32_e32 v13, vcc, v19, v7, vcc
	v_mov_b32_e32 v16, s19
	v_sub_co_u32_e32 v17, vcc, s18, v14
	v_subb_co_u32_e32 v16, vcc, v16, v15, vcc
	v_add_co_u32_e32 v18, vcc, -2, v17
	v_addc_co_u32_e32 v19, vcc, -1, v16, vcc
	v_mad_u64_u32 v[16:17], s[2:3], v18, s18, v[12:13]
	v_mul_lo_u32 v18, v18, s19
	v_mul_lo_u32 v19, v19, s18
	v_add3_u32 v17, v19, v17, v18
	v_mul_lo_u32 v18, v6, s19
	v_mul_lo_u32 v19, v7, s18
	v_mad_u64_u32 v[6:7], s[2:3], v6, s18, v[14:15]
	v_add3_u32 v7, v19, v7, v18
	v_mul_lo_u32 v14, v7, s20
	v_mul_lo_u32 v15, v6, s21
	v_mad_u64_u32 v[6:7], s[2:3], v6, s20, 0
	v_add3_u32 v7, v7, v15, v14
	v_lshlrev_b64 v[6:7], 2, v[6:7]
	v_mov_b32_e32 v14, s9
	v_add_co_u32_e32 v6, vcc, s8, v6
	v_addc_co_u32_e32 v7, vcc, v14, v7, vcc
	v_mul_lo_u32 v14, v13, s20
	v_mul_lo_u32 v15, v12, s21
	v_mad_u64_u32 v[12:13], s[2:3], v12, s20, 0
	v_add3_u32 v13, v13, v15, v14
	v_lshlrev_b64 v[12:13], 2, v[12:13]
	v_mov_b32_e32 v14, s13
	v_add_co_u32_e32 v12, vcc, s12, v12
	v_addc_co_u32_e32 v13, vcc, v14, v13, vcc
	v_mul_lo_u32 v18, s21, v16
	v_mul_lo_u32 v17, s20, v17
	v_mad_u64_u32 v[14:15], s[2:3], s20, v16, 0
	v_add3_u32 v15, v15, v17, v18
	v_lshlrev_b64 v[14:15], 2, v[14:15]
	s_ashr_i32 s1, s0, 31
	v_mov_b32_e32 v16, s9
	v_add_co_u32_e32 v14, vcc, s8, v14
	v_addc_co_u32_e32 v15, vcc, v16, v15, vcc
	s_lshl_b64 s[2:3], s[0:1], 2
	s_mov_b64 s[4:5], 0
.LBB29_3:                               ; =>This Inner Loop Header: Depth=1
	v_add_co_u32_e32 v16, vcc, v12, v2
	v_addc_co_u32_e32 v17, vcc, v13, v3, vcc
	v_add_co_u32_e32 v18, vcc, v10, v2
	v_addc_co_u32_e32 v19, vcc, v11, v3, vcc
	global_load_dword v20, v[18:19], off
	global_load_dword v21, v[16:17], off
	v_add_co_u32_e32 v16, vcc, v14, v2
	v_addc_co_u32_e32 v17, vcc, v15, v3, vcc
	v_add_co_u32_e32 v18, vcc, v6, v2
	v_addc_co_u32_e32 v19, vcc, v7, v3, vcc
	v_mov_b32_e32 v22, s3
	v_add_co_u32_e32 v2, vcc, s2, v2
	v_add_co_u32_e64 v4, s[0:1], s2, v4
	v_addc_co_u32_e64 v5, s[0:1], v5, v22, s[0:1]
	v_addc_co_u32_e32 v3, vcc, v3, v22, vcc
	v_cmp_ge_u64_e32 vcc, v[4:5], v[0:1]
	s_or_b64 s[4:5], vcc, s[4:5]
	s_waitcnt vmcnt(0)
	v_sub_f32_e32 v20, v20, v21
	v_cmp_lt_f32_e32 vcc, 0, v20
	v_cndmask_b32_e64 v21, 0, 1, vcc
	v_cmp_gt_f32_e32 vcc, 0, v20
	v_subbrev_co_u32_e32 v21, vcc, 0, v21, vcc
	v_cvt_f32_i32_e32 v21, v21
	v_cmp_eq_f32_e64 s[0:1], |v20|, v9
	v_cndmask_b32_e64 v20, 0, 1.0, s[0:1]
	v_mul_f32_e32 v21, v8, v21
	v_mul_f32_e32 v20, v21, v20
	global_store_dword v[18:19], v20, off
	v_xor_b32_e32 v18, 0x80000000, v20
	global_store_dword v[16:17], v18, off
	s_andn2_b64 exec, exec, s[4:5]
	s_cbranch_execnz .LBB29_3
.LBB29_4:
	s_endpgm
	.section	.rodata,"a",@progbits
	.p2align	6, 0x0
	.amdhsa_kernel _ZN2at6native12_GLOBAL__N_131pdist_backward_kernel_cuda_implIfNS1_5distsIfE3infEEEvPT_PKS6_S9_S9_llllS6_dd
		.amdhsa_group_segment_fixed_size 0
		.amdhsa_private_segment_fixed_size 0
		.amdhsa_kernarg_size 344
		.amdhsa_user_sgpr_count 6
		.amdhsa_user_sgpr_private_segment_buffer 1
		.amdhsa_user_sgpr_dispatch_ptr 0
		.amdhsa_user_sgpr_queue_ptr 0
		.amdhsa_user_sgpr_kernarg_segment_ptr 1
		.amdhsa_user_sgpr_dispatch_id 0
		.amdhsa_user_sgpr_flat_scratch_init 0
		.amdhsa_user_sgpr_kernarg_preload_length 0
		.amdhsa_user_sgpr_kernarg_preload_offset 0
		.amdhsa_user_sgpr_private_segment_size 0
		.amdhsa_uses_dynamic_stack 0
		.amdhsa_system_sgpr_private_segment_wavefront_offset 0
		.amdhsa_system_sgpr_workgroup_id_x 1
		.amdhsa_system_sgpr_workgroup_id_y 1
		.amdhsa_system_sgpr_workgroup_id_z 0
		.amdhsa_system_sgpr_workgroup_info 0
		.amdhsa_system_vgpr_workitem_id 1
		.amdhsa_next_free_vgpr 23
		.amdhsa_next_free_sgpr 26
		.amdhsa_accum_offset 24
		.amdhsa_reserve_vcc 1
		.amdhsa_reserve_flat_scratch 0
		.amdhsa_float_round_mode_32 0
		.amdhsa_float_round_mode_16_64 0
		.amdhsa_float_denorm_mode_32 3
		.amdhsa_float_denorm_mode_16_64 3
		.amdhsa_dx10_clamp 1
		.amdhsa_ieee_mode 1
		.amdhsa_fp16_overflow 0
		.amdhsa_tg_split 0
		.amdhsa_exception_fp_ieee_invalid_op 0
		.amdhsa_exception_fp_denorm_src 0
		.amdhsa_exception_fp_ieee_div_zero 0
		.amdhsa_exception_fp_ieee_overflow 0
		.amdhsa_exception_fp_ieee_underflow 0
		.amdhsa_exception_fp_ieee_inexact 0
		.amdhsa_exception_int_div_zero 0
	.end_amdhsa_kernel
	.section	.text._ZN2at6native12_GLOBAL__N_131pdist_backward_kernel_cuda_implIfNS1_5distsIfE3infEEEvPT_PKS6_S9_S9_llllS6_dd,"axG",@progbits,_ZN2at6native12_GLOBAL__N_131pdist_backward_kernel_cuda_implIfNS1_5distsIfE3infEEEvPT_PKS6_S9_S9_llllS6_dd,comdat
.Lfunc_end29:
	.size	_ZN2at6native12_GLOBAL__N_131pdist_backward_kernel_cuda_implIfNS1_5distsIfE3infEEEvPT_PKS6_S9_S9_llllS6_dd, .Lfunc_end29-_ZN2at6native12_GLOBAL__N_131pdist_backward_kernel_cuda_implIfNS1_5distsIfE3infEEEvPT_PKS6_S9_S9_llllS6_dd
                                        ; -- End function
	.section	.AMDGPU.csdata,"",@progbits
; Kernel info:
; codeLenInByte = 1084
; NumSgprs: 30
; NumVgprs: 23
; NumAgprs: 0
; TotalNumVgprs: 23
; ScratchSize: 0
; MemoryBound: 0
; FloatMode: 240
; IeeeMode: 1
; LDSByteSize: 0 bytes/workgroup (compile time only)
; SGPRBlocks: 3
; VGPRBlocks: 2
; NumSGPRsForWavesPerEU: 30
; NumVGPRsForWavesPerEU: 23
; AccumOffset: 24
; Occupancy: 8
; WaveLimiterHint : 0
; COMPUTE_PGM_RSRC2:SCRATCH_EN: 0
; COMPUTE_PGM_RSRC2:USER_SGPR: 6
; COMPUTE_PGM_RSRC2:TRAP_HANDLER: 0
; COMPUTE_PGM_RSRC2:TGID_X_EN: 1
; COMPUTE_PGM_RSRC2:TGID_Y_EN: 1
; COMPUTE_PGM_RSRC2:TGID_Z_EN: 0
; COMPUTE_PGM_RSRC2:TIDIG_COMP_CNT: 1
; COMPUTE_PGM_RSRC3_GFX90A:ACCUM_OFFSET: 5
; COMPUTE_PGM_RSRC3_GFX90A:TG_SPLIT: 0
	.section	.text._ZN2at6native12_GLOBAL__N_131cdist_backward_kernel_cuda_implIdNS1_5distsIdE1pEEEvPT_PKS6_S9_S9_S9_S6_lllllll,"axG",@progbits,_ZN2at6native12_GLOBAL__N_131cdist_backward_kernel_cuda_implIdNS1_5distsIdE1pEEEvPT_PKS6_S9_S9_S9_S6_lllllll,comdat
	.globl	_ZN2at6native12_GLOBAL__N_131cdist_backward_kernel_cuda_implIdNS1_5distsIdE1pEEEvPT_PKS6_S9_S9_S9_S6_lllllll ; -- Begin function _ZN2at6native12_GLOBAL__N_131cdist_backward_kernel_cuda_implIdNS1_5distsIdE1pEEEvPT_PKS6_S9_S9_S9_S6_lllllll
	.p2align	8
	.type	_ZN2at6native12_GLOBAL__N_131cdist_backward_kernel_cuda_implIdNS1_5distsIdE1pEEEvPT_PKS6_S9_S9_S9_S6_lllllll,@function
_ZN2at6native12_GLOBAL__N_131cdist_backward_kernel_cuda_implIdNS1_5distsIdE1pEEEvPT_PKS6_S9_S9_S9_S6_lllllll: ; @_ZN2at6native12_GLOBAL__N_131cdist_backward_kernel_cuda_implIdNS1_5distsIdE1pEEEvPT_PKS6_S9_S9_S9_S6_lllllll
; %bb.0:
	s_load_dwordx2 s[0:1], s[4:5], 0x70
	s_load_dwordx8 s[36:43], s[4:5], 0x40
	s_add_u32 s2, s4, 0x68
	s_addc_u32 s3, s5, 0
	v_bfe_u32 v1, v0, 10, 10
	s_waitcnt lgkmcnt(0)
	s_mul_i32 s0, s0, s7
	s_add_i32 s0, s0, s8
	s_lshr_b32 s7, s1, 16
	s_mul_i32 s0, s0, s7
	v_add_u32_e32 v2, s0, v1
	v_ashrrev_i32_e32 v3, 31, v2
	v_cmp_gt_i64_e32 vcc, s[38:39], v[2:3]
	s_and_saveexec_b64 s[8:9], vcc
	s_cbranch_execz .LBB30_14
; %bb.1:
	s_load_dwordx2 s[38:39], s[4:5], 0x60
	s_and_b32 s33, s1, 0xffff
	s_mul_i32 s6, s6, s33
	v_and_b32_e32 v0, 0x3ff, v0
	v_add_u32_e32 v18, s6, v0
	v_ashrrev_i32_e32 v19, 31, v18
	v_cmp_gt_i64_e32 vcc, s[36:37], v[18:19]
	s_and_b64 exec, exec, vcc
	s_cbranch_execz .LBB30_14
; %bb.2:
	v_or_b32_e32 v1, s41, v3
	v_mov_b32_e32 v0, 0
	v_cmp_ne_u64_e32 vcc, 0, v[0:1]
                                        ; implicit-def: $vgpr24_vgpr25
	s_and_saveexec_b64 s[0:1], vcc
	s_xor_b64 s[6:7], exec, s[0:1]
	s_cbranch_execz .LBB30_4
; %bb.3:
	s_ashr_i32 s8, s41, 31
	s_add_u32 s0, s40, s8
	s_mov_b32 s9, s8
	s_addc_u32 s1, s41, s8
	s_xor_b64 s[10:11], s[0:1], s[8:9]
	v_cvt_f32_u32_e32 v0, s10
	v_cvt_f32_u32_e32 v1, s11
	s_sub_u32 s0, 0, s10
	s_subb_u32 s1, 0, s11
	v_madmk_f32 v0, v1, 0x4f800000, v0
	v_rcp_f32_e32 v0, v0
	v_mul_f32_e32 v0, 0x5f7ffffc, v0
	v_mul_f32_e32 v1, 0x2f800000, v0
	v_trunc_f32_e32 v1, v1
	v_madmk_f32 v0, v1, 0xcf800000, v0
	v_cvt_u32_f32_e32 v1, v1
	v_cvt_u32_f32_e32 v0, v0
	v_mul_lo_u32 v4, s0, v1
	v_mul_hi_u32 v6, s0, v0
	v_mul_lo_u32 v5, s1, v0
	v_add_u32_e32 v4, v6, v4
	v_mul_lo_u32 v7, s0, v0
	v_add_u32_e32 v4, v4, v5
	v_mul_lo_u32 v6, v0, v4
	v_mul_hi_u32 v8, v0, v7
	v_mul_hi_u32 v5, v0, v4
	v_add_co_u32_e32 v6, vcc, v8, v6
	v_addc_co_u32_e32 v5, vcc, 0, v5, vcc
	v_mul_hi_u32 v9, v1, v7
	v_mul_lo_u32 v7, v1, v7
	v_add_co_u32_e32 v6, vcc, v6, v7
	v_mul_hi_u32 v8, v1, v4
	v_addc_co_u32_e32 v5, vcc, v5, v9, vcc
	v_addc_co_u32_e32 v6, vcc, 0, v8, vcc
	v_mul_lo_u32 v4, v1, v4
	v_add_co_u32_e32 v4, vcc, v5, v4
	v_addc_co_u32_e32 v5, vcc, 0, v6, vcc
	v_add_co_u32_e32 v0, vcc, v0, v4
	v_addc_co_u32_e32 v1, vcc, v1, v5, vcc
	v_mul_lo_u32 v4, s0, v1
	v_mul_hi_u32 v5, s0, v0
	v_add_u32_e32 v4, v5, v4
	v_mul_lo_u32 v5, s1, v0
	v_add_u32_e32 v4, v4, v5
	v_mul_lo_u32 v6, s0, v0
	v_mul_hi_u32 v7, v1, v6
	v_mul_lo_u32 v8, v1, v6
	v_mul_lo_u32 v10, v0, v4
	v_mul_hi_u32 v6, v0, v6
	v_mul_hi_u32 v9, v0, v4
	v_add_co_u32_e32 v6, vcc, v6, v10
	v_addc_co_u32_e32 v9, vcc, 0, v9, vcc
	v_add_co_u32_e32 v6, vcc, v6, v8
	v_mul_hi_u32 v5, v1, v4
	v_addc_co_u32_e32 v6, vcc, v9, v7, vcc
	v_addc_co_u32_e32 v5, vcc, 0, v5, vcc
	v_mul_lo_u32 v4, v1, v4
	v_add_co_u32_e32 v4, vcc, v6, v4
	v_addc_co_u32_e32 v5, vcc, 0, v5, vcc
	v_add_co_u32_e32 v4, vcc, v0, v4
	v_addc_co_u32_e32 v5, vcc, v1, v5, vcc
	v_ashrrev_i32_e32 v6, 31, v3
	v_add_co_u32_e32 v0, vcc, v2, v6
	v_addc_co_u32_e32 v1, vcc, v3, v6, vcc
	v_xor_b32_e32 v8, v0, v6
	v_xor_b32_e32 v7, v1, v6
	v_mad_u64_u32 v[0:1], s[0:1], v8, v5, 0
	v_mul_hi_u32 v9, v8, v4
	v_add_co_u32_e32 v9, vcc, v9, v0
	v_addc_co_u32_e32 v10, vcc, 0, v1, vcc
	v_mad_u64_u32 v[0:1], s[0:1], v7, v5, 0
	v_mad_u64_u32 v[4:5], s[0:1], v7, v4, 0
	v_add_co_u32_e32 v4, vcc, v9, v4
	v_addc_co_u32_e32 v4, vcc, v10, v5, vcc
	v_addc_co_u32_e32 v1, vcc, 0, v1, vcc
	v_add_co_u32_e32 v4, vcc, v4, v0
	v_addc_co_u32_e32 v5, vcc, 0, v1, vcc
	v_mul_lo_u32 v9, s11, v4
	v_mul_lo_u32 v10, s10, v5
	v_mad_u64_u32 v[0:1], s[0:1], s10, v4, 0
	v_add3_u32 v1, v1, v10, v9
	v_sub_u32_e32 v9, v7, v1
	v_mov_b32_e32 v10, s11
	v_sub_co_u32_e32 v0, vcc, v8, v0
	v_subb_co_u32_e64 v8, s[0:1], v9, v10, vcc
	v_subrev_co_u32_e64 v9, s[0:1], s10, v0
	v_subbrev_co_u32_e64 v8, s[0:1], 0, v8, s[0:1]
	v_cmp_le_u32_e64 s[0:1], s11, v8
	v_cndmask_b32_e64 v10, 0, -1, s[0:1]
	v_cmp_le_u32_e64 s[0:1], s10, v9
	v_cndmask_b32_e64 v9, 0, -1, s[0:1]
	v_cmp_eq_u32_e64 s[0:1], s11, v8
	v_cndmask_b32_e64 v8, v10, v9, s[0:1]
	v_add_co_u32_e64 v9, s[0:1], 2, v4
	v_subb_co_u32_e32 v1, vcc, v7, v1, vcc
	v_addc_co_u32_e64 v10, s[0:1], 0, v5, s[0:1]
	v_cmp_le_u32_e32 vcc, s11, v1
	v_add_co_u32_e64 v11, s[0:1], 1, v4
	v_cndmask_b32_e64 v7, 0, -1, vcc
	v_cmp_le_u32_e32 vcc, s10, v0
	v_addc_co_u32_e64 v12, s[0:1], 0, v5, s[0:1]
	v_cndmask_b32_e64 v0, 0, -1, vcc
	v_cmp_eq_u32_e32 vcc, s11, v1
	v_cmp_ne_u32_e64 s[0:1], 0, v8
	v_cndmask_b32_e32 v0, v7, v0, vcc
	v_cmp_ne_u32_e32 vcc, 0, v0
	v_cndmask_b32_e64 v1, v11, v9, s[0:1]
	v_cndmask_b32_e64 v8, v12, v10, s[0:1]
	v_cndmask_b32_e32 v1, v4, v1, vcc
	v_xor_b32_e32 v4, s8, v6
	v_cndmask_b32_e32 v0, v5, v8, vcc
	v_xor_b32_e32 v1, v1, v4
	v_xor_b32_e32 v0, v0, v4
	v_sub_co_u32_e32 v24, vcc, v1, v4
	v_subb_co_u32_e32 v25, vcc, v0, v4, vcc
.LBB30_4:
	s_andn2_saveexec_b64 s[0:1], s[6:7]
	s_cbranch_execz .LBB30_6
; %bb.5:
	v_cvt_f32_u32_e32 v0, s40
	s_sub_i32 s6, 0, s40
	v_mov_b32_e32 v25, 0
	v_rcp_iflag_f32_e32 v0, v0
	v_mul_f32_e32 v0, 0x4f7ffffe, v0
	v_cvt_u32_f32_e32 v0, v0
	v_mul_lo_u32 v1, s6, v0
	v_mul_hi_u32 v1, v0, v1
	v_add_u32_e32 v0, v0, v1
	v_mul_hi_u32 v0, v2, v0
	v_mul_lo_u32 v1, v0, s40
	v_sub_u32_e32 v1, v2, v1
	v_add_u32_e32 v4, 1, v0
	v_subrev_u32_e32 v5, s40, v1
	v_cmp_le_u32_e32 vcc, s40, v1
	v_cndmask_b32_e32 v1, v1, v5, vcc
	v_cndmask_b32_e32 v0, v0, v4, vcc
	v_add_u32_e32 v4, 1, v0
	v_cmp_le_u32_e32 vcc, s40, v1
	v_cndmask_b32_e32 v24, v0, v4, vcc
.LBB30_6:
	s_or_b64 exec, exec, s[0:1]
	s_load_dwordx16 s[12:27], s[4:5], 0x0
	v_mul_lo_u32 v4, v25, s40
	v_mul_lo_u32 v5, v24, s41
	v_mad_u64_u32 v[0:1], s[0:1], v24, s40, 0
	v_add3_u32 v1, v1, v5, v4
	v_sub_co_u32_e32 v25, vcc, v2, v0
	v_subb_co_u32_e32 v48, vcc, v3, v1, vcc
	s_waitcnt lgkmcnt(0)
	v_or_b32_e32 v5, s27, v48
	v_mov_b32_e32 v4, 0
	v_cmp_ne_u64_e32 vcc, 0, v[4:5]
                                        ; implicit-def: $vgpr40_vgpr41
	s_and_saveexec_b64 s[0:1], vcc
	s_xor_b64 s[4:5], exec, s[0:1]
	s_cbranch_execz .LBB30_8
; %bb.7:
	s_ashr_i32 s6, s27, 31
	s_add_u32 s0, s26, s6
	s_mov_b32 s7, s6
	s_addc_u32 s1, s27, s6
	s_xor_b64 s[8:9], s[0:1], s[6:7]
	v_cvt_f32_u32_e32 v1, s8
	v_cvt_f32_u32_e32 v4, s9
	s_sub_u32 s0, 0, s8
	s_subb_u32 s1, 0, s9
	v_madmk_f32 v1, v4, 0x4f800000, v1
	v_rcp_f32_e32 v1, v1
	v_mul_f32_e32 v1, 0x5f7ffffc, v1
	v_mul_f32_e32 v4, 0x2f800000, v1
	v_trunc_f32_e32 v4, v4
	v_madmk_f32 v1, v4, 0xcf800000, v1
	v_cvt_u32_f32_e32 v4, v4
	v_cvt_u32_f32_e32 v1, v1
	v_mul_lo_u32 v5, s0, v4
	v_mul_hi_u32 v7, s0, v1
	v_mul_lo_u32 v6, s1, v1
	v_add_u32_e32 v5, v7, v5
	v_mul_lo_u32 v8, s0, v1
	v_add_u32_e32 v5, v5, v6
	v_mul_lo_u32 v7, v1, v5
	v_mul_hi_u32 v9, v1, v8
	v_mul_hi_u32 v6, v1, v5
	v_add_co_u32_e32 v7, vcc, v9, v7
	v_addc_co_u32_e32 v6, vcc, 0, v6, vcc
	v_mul_hi_u32 v10, v4, v8
	v_mul_lo_u32 v8, v4, v8
	v_add_co_u32_e32 v7, vcc, v7, v8
	v_mul_hi_u32 v9, v4, v5
	v_addc_co_u32_e32 v6, vcc, v6, v10, vcc
	v_addc_co_u32_e32 v7, vcc, 0, v9, vcc
	v_mul_lo_u32 v5, v4, v5
	v_add_co_u32_e32 v5, vcc, v6, v5
	v_addc_co_u32_e32 v6, vcc, 0, v7, vcc
	v_add_co_u32_e32 v1, vcc, v1, v5
	v_addc_co_u32_e32 v4, vcc, v4, v6, vcc
	v_mul_lo_u32 v5, s0, v4
	v_mul_hi_u32 v6, s0, v1
	v_add_u32_e32 v5, v6, v5
	v_mul_lo_u32 v6, s1, v1
	v_add_u32_e32 v5, v5, v6
	v_mul_lo_u32 v7, s0, v1
	v_mul_hi_u32 v8, v4, v7
	v_mul_lo_u32 v9, v4, v7
	v_mul_lo_u32 v11, v1, v5
	v_mul_hi_u32 v7, v1, v7
	v_mul_hi_u32 v10, v1, v5
	v_add_co_u32_e32 v7, vcc, v7, v11
	v_addc_co_u32_e32 v10, vcc, 0, v10, vcc
	v_add_co_u32_e32 v7, vcc, v7, v9
	v_mul_hi_u32 v6, v4, v5
	v_addc_co_u32_e32 v7, vcc, v10, v8, vcc
	v_addc_co_u32_e32 v6, vcc, 0, v6, vcc
	v_mul_lo_u32 v5, v4, v5
	v_add_co_u32_e32 v5, vcc, v7, v5
	v_addc_co_u32_e32 v6, vcc, 0, v6, vcc
	v_add_co_u32_e32 v1, vcc, v1, v5
	v_addc_co_u32_e32 v6, vcc, v4, v6, vcc
	v_ashrrev_i32_e32 v8, 31, v48
	v_add_co_u32_e32 v4, vcc, v25, v8
	v_addc_co_u32_e32 v5, vcc, v48, v8, vcc
	v_xor_b32_e32 v10, v4, v8
	v_xor_b32_e32 v9, v5, v8
	v_mad_u64_u32 v[4:5], s[0:1], v10, v6, 0
	v_mul_hi_u32 v7, v10, v1
	v_add_co_u32_e32 v11, vcc, v7, v4
	v_addc_co_u32_e32 v12, vcc, 0, v5, vcc
	v_mad_u64_u32 v[4:5], s[0:1], v9, v6, 0
	v_mad_u64_u32 v[6:7], s[0:1], v9, v1, 0
	v_add_co_u32_e32 v1, vcc, v11, v6
	v_addc_co_u32_e32 v1, vcc, v12, v7, vcc
	v_addc_co_u32_e32 v5, vcc, 0, v5, vcc
	v_add_co_u32_e32 v1, vcc, v1, v4
	v_addc_co_u32_e32 v6, vcc, 0, v5, vcc
	v_mul_lo_u32 v7, s9, v1
	v_mul_lo_u32 v11, s8, v6
	v_mad_u64_u32 v[4:5], s[0:1], s8, v1, 0
	v_add3_u32 v5, v5, v11, v7
	v_sub_u32_e32 v7, v9, v5
	v_mov_b32_e32 v11, s9
	v_sub_co_u32_e32 v4, vcc, v10, v4
	v_subb_co_u32_e64 v7, s[0:1], v7, v11, vcc
	v_subrev_co_u32_e64 v10, s[0:1], s8, v4
	v_subbrev_co_u32_e64 v7, s[0:1], 0, v7, s[0:1]
	v_cmp_le_u32_e64 s[0:1], s9, v7
	v_cndmask_b32_e64 v11, 0, -1, s[0:1]
	v_cmp_le_u32_e64 s[0:1], s8, v10
	v_cndmask_b32_e64 v10, 0, -1, s[0:1]
	v_cmp_eq_u32_e64 s[0:1], s9, v7
	v_cndmask_b32_e64 v7, v11, v10, s[0:1]
	v_add_co_u32_e64 v10, s[0:1], 2, v1
	v_subb_co_u32_e32 v5, vcc, v9, v5, vcc
	v_addc_co_u32_e64 v11, s[0:1], 0, v6, s[0:1]
	v_cmp_le_u32_e32 vcc, s9, v5
	v_add_co_u32_e64 v12, s[0:1], 1, v1
	v_cndmask_b32_e64 v9, 0, -1, vcc
	v_cmp_le_u32_e32 vcc, s8, v4
	v_addc_co_u32_e64 v13, s[0:1], 0, v6, s[0:1]
	v_cndmask_b32_e64 v4, 0, -1, vcc
	v_cmp_eq_u32_e32 vcc, s9, v5
	v_cmp_ne_u32_e64 s[0:1], 0, v7
	v_cndmask_b32_e32 v4, v9, v4, vcc
	v_cmp_ne_u32_e32 vcc, 0, v4
	v_cndmask_b32_e64 v5, v12, v10, s[0:1]
	v_cndmask_b32_e64 v7, v13, v11, s[0:1]
	v_cndmask_b32_e32 v1, v1, v5, vcc
	v_xor_b32_e32 v5, s6, v8
	v_cndmask_b32_e32 v4, v6, v7, vcc
	v_xor_b32_e32 v1, v1, v5
	v_xor_b32_e32 v4, v4, v5
	v_sub_co_u32_e32 v40, vcc, v1, v5
	v_subb_co_u32_e32 v41, vcc, v4, v5, vcc
.LBB30_8:
	s_or_saveexec_b64 s[0:1], s[4:5]
	s_load_dword s57, s[2:3], 0x0
	s_xor_b64 exec, exec, s[0:1]
	s_cbranch_execz .LBB30_10
; %bb.9:
	v_cvt_f32_u32_e32 v1, s26
	s_sub_i32 s2, 0, s26
	v_mov_b32_e32 v41, 0
	v_rcp_iflag_f32_e32 v1, v1
	v_mul_f32_e32 v1, 0x4f7ffffe, v1
	v_cvt_u32_f32_e32 v1, v1
	v_mul_lo_u32 v4, s2, v1
	v_mul_hi_u32 v4, v1, v4
	v_add_u32_e32 v1, v1, v4
	v_mul_hi_u32 v1, v25, v1
	v_mul_lo_u32 v4, v1, s26
	v_sub_u32_e32 v4, v25, v4
	v_add_u32_e32 v5, 1, v1
	v_subrev_u32_e32 v6, s26, v4
	v_cmp_le_u32_e32 vcc, s26, v4
	v_cndmask_b32_e32 v4, v4, v6, vcc
	v_cndmask_b32_e32 v1, v1, v5, vcc
	v_add_u32_e32 v5, 1, v1
	v_cmp_le_u32_e32 vcc, s26, v4
	v_cndmask_b32_e32 v40, v1, v5, vcc
.LBB30_10:
	s_or_b64 exec, exec, s[0:1]
	v_lshlrev_b64 v[20:21], 3, v[2:3]
	v_mov_b32_e32 v1, s21
	v_add_co_u32_e32 v2, vcc, s20, v20
	v_addc_co_u32_e32 v3, vcc, v1, v21, vcc
	global_load_dwordx2 v[44:45], v[2:3], off
	v_mov_b32_e32 v22, s15
	v_add_co_u32_e32 v52, vcc, s14, v20
	v_addc_co_u32_e32 v53, vcc, v22, v21, vcc
	v_add_f64 v[42:43], s[22:23], -1.0
	v_mov_b32_e32 v62, 0x3ff00000
	v_mul_lo_u32 v1, s36, v0
	v_mov_b32_e32 v0, 0
	v_ashrrev_i64 v[54:55], 29, v[0:1]
	s_mov_b32 s10, 0x55555555
	s_mov_b32 s11, 0x3fe55555
	;; [unrolled: 1-line block ×6, first 2 shown]
	v_mov_b32_e32 v2, 0x968915a9
	v_mov_b32_e32 v3, 0x3fba6564
	s_mov_b32 s20, 0x4222de17
	s_mov_b32 s21, 0x3fbdee67
	v_mov_b32_e32 v4, 0x3abe935a
	v_mov_b32_e32 v5, 0x3fbe25e4
	v_pk_mov_b32 v[20:21], v[2:3], v[2:3] op_sel:[0,1]
	v_mov_b32_e32 v6, 0x47e6c9c2
	v_mov_b32_e32 v7, 0x3fc110ef
	v_pk_mov_b32 v[22:23], v[4:5], v[4:5] op_sel:[0,1]
	;; [unrolled: 3-line block ×7, first 2 shown]
	v_pk_mov_b32 v[36:37], v[16:17], v[16:17] op_sel:[0,1]
	s_mov_b32 s15, 0xbfe55555
	s_mov_b32 s34, 0xd5df274d
	;; [unrolled: 1-line block ×4, first 2 shown]
	s_movk_i32 s56, 0x204
	s_mov_b32 s44, 0x652b82fe
	s_mov_b32 s45, 0x3ff71547
	;; [unrolled: 1-line block ×14, first 2 shown]
	v_mov_b32_e32 v63, 0x7ff00000
	v_lshlrev_b64 v[18:19], 3, v[18:19]
	s_waitcnt vmcnt(0)
	v_cmp_eq_f64_e32 vcc, 1.0, v[44:45]
	v_cndmask_b32_e32 v47, v43, v62, vcc
	v_cndmask_b32_e64 v46, v42, 0, vcc
	v_and_b32_e32 v1, 0x7fffffff, v45
	v_cmp_eq_f64_e64 s[2:3], 0, v[46:47]
	v_cndmask_b32_e64 v51, v1, v62, s[2:3]
	v_cndmask_b32_e64 v50, v44, 0, s[2:3]
	v_frexp_mant_f64_e32 v[38:39], v[50:51]
	v_cmp_gt_f64_e64 s[0:1], s[10:11], v[38:39]
	v_cndmask_b32_e64 v1, v62, 2.0, s[0:1]
	v_frexp_exp_i32_f64_e32 v56, v[50:51]
	v_mul_f64 v[38:39], v[38:39], v[0:1]
	v_subbrev_co_u32_e64 v1, s[0:1], 0, v56, s[0:1]
	v_add_f64 v[58:59], v[38:39], 1.0
	v_cvt_f64_i32_e32 v[60:61], v1
	v_rcp_f64_e32 v[66:67], v[58:59]
	v_add_f64 v[64:65], v[58:59], -1.0
	v_mul_f64 v[68:69], v[60:61], s[28:29]
	v_add_f64 v[56:57], v[38:39], -1.0
	v_add_f64 v[38:39], v[38:39], -v[64:65]
	v_fma_f64 v[64:65], v[60:61], s[28:29], -v[68:69]
	v_fmac_f64_e32 v[64:65], s[30:31], v[60:61]
	v_add_f64 v[60:61], v[68:69], v[64:65]
	v_fma_f64 v[70:71], -v[58:59], v[66:67], 1.0
	v_add_f64 v[68:69], v[60:61], -v[68:69]
	v_fmac_f64_e32 v[66:67], v[70:71], v[66:67]
	v_add_f64 v[64:65], v[64:65], -v[68:69]
	v_fma_f64 v[68:69], -v[58:59], v[66:67], 1.0
	v_fmac_f64_e32 v[66:67], v[68:69], v[66:67]
	v_mul_f64 v[68:69], v[56:57], v[66:67]
	v_mul_f64 v[70:71], v[58:59], v[68:69]
	v_fma_f64 v[58:59], v[68:69], v[58:59], -v[70:71]
	v_fmac_f64_e32 v[58:59], v[68:69], v[38:39]
	v_add_f64 v[38:39], v[70:71], v[58:59]
	v_add_f64 v[72:73], v[56:57], -v[38:39]
	v_add_f64 v[70:71], v[38:39], -v[70:71]
	;; [unrolled: 1-line block ×5, first 2 shown]
	v_add_f64 v[38:39], v[58:59], v[38:39]
	v_add_f64 v[38:39], v[72:73], v[38:39]
	v_mul_f64 v[38:39], v[66:67], v[38:39]
	v_add_f64 v[56:57], v[68:69], v[38:39]
	v_add_f64 v[58:59], v[56:57], -v[68:69]
	v_mul_f64 v[66:67], v[56:57], v[56:57]
	v_add_f64 v[38:39], v[38:39], -v[58:59]
	v_fma_f64 v[58:59], v[56:57], v[56:57], -v[66:67]
	v_add_f64 v[68:69], v[38:39], v[38:39]
	v_fmac_f64_e32 v[58:59], v[56:57], v[68:69]
	v_add_f64 v[68:69], v[66:67], v[58:59]
	v_fmac_f64_e32 v[20:21], s[20:21], v[68:69]
	v_fmac_f64_e32 v[22:23], v[68:69], v[20:21]
	v_fmac_f64_e32 v[26:27], v[68:69], v[22:23]
	v_fmac_f64_e32 v[28:29], v[68:69], v[26:27]
	v_fmac_f64_e32 v[30:31], v[68:69], v[28:29]
	v_fmac_f64_e32 v[32:33], v[68:69], v[30:31]
	v_fmac_f64_e32 v[34:35], v[68:69], v[32:33]
	v_fmac_f64_e32 v[36:37], v[68:69], v[34:35]
	v_add_f64 v[66:67], v[68:69], -v[66:67]
	v_mul_f64 v[26:27], v[68:69], v[36:37]
	v_add_f64 v[58:59], v[58:59], -v[66:67]
	v_fma_f64 v[28:29], v[68:69], v[36:37], -v[26:27]
	v_fmac_f64_e32 v[28:29], v[58:59], v[36:37]
	v_add_f64 v[30:31], v[26:27], v[28:29]
	v_add_f64 v[26:27], v[30:31], -v[26:27]
	v_add_f64 v[32:33], v[30:31], s[10:11]
	v_mul_f64 v[70:71], v[56:57], v[68:69]
	v_add_f64 v[26:27], v[28:29], -v[26:27]
	v_add_f64 v[28:29], v[32:33], s[14:15]
	v_fma_f64 v[20:21], v[68:69], v[56:57], -v[70:71]
	v_add_f64 v[28:29], v[30:31], -v[28:29]
	v_add_f64 v[26:27], v[26:27], s[34:35]
	v_fmac_f64_e32 v[20:21], v[68:69], v[38:39]
	v_add_f64 v[26:27], v[26:27], v[28:29]
	v_fmac_f64_e32 v[20:21], v[58:59], v[56:57]
	v_add_f64 v[28:29], v[32:33], v[26:27]
	v_add_f64 v[22:23], v[70:71], v[20:21]
	v_add_f64 v[30:31], v[32:33], -v[28:29]
	v_add_f64 v[26:27], v[26:27], v[30:31]
	v_mul_f64 v[30:31], v[22:23], v[28:29]
	v_fma_f64 v[32:33], v[22:23], v[28:29], -v[30:31]
	v_fmac_f64_e32 v[32:33], v[22:23], v[26:27]
	v_add_f64 v[22:23], v[22:23], -v[70:71]
	v_add_f64 v[20:21], v[20:21], -v[22:23]
	v_fmac_f64_e32 v[32:33], v[20:21], v[28:29]
	v_ldexp_f64 v[26:27], v[56:57], 1
	v_add_f64 v[20:21], v[30:31], v[32:33]
	v_add_f64 v[22:23], v[20:21], -v[30:31]
	v_add_f64 v[28:29], v[26:27], v[20:21]
	v_ldexp_f64 v[34:35], v[38:39], 1
	v_add_f64 v[22:23], v[32:33], -v[22:23]
	v_add_f64 v[26:27], v[28:29], -v[26:27]
	;; [unrolled: 1-line block ×3, first 2 shown]
	v_add_f64 v[22:23], v[34:35], v[22:23]
	v_add_f64 v[20:21], v[22:23], v[20:21]
	;; [unrolled: 1-line block ×3, first 2 shown]
	v_add_f64 v[26:27], v[22:23], -v[28:29]
	v_add_f64 v[20:21], v[20:21], -v[26:27]
	v_add_f64 v[26:27], v[60:61], v[22:23]
	v_add_f64 v[28:29], v[26:27], -v[60:61]
	v_add_f64 v[30:31], v[26:27], -v[28:29]
	;; [unrolled: 1-line block ×4, first 2 shown]
	v_add_f64 v[22:23], v[22:23], v[30:31]
	v_add_f64 v[28:29], v[64:65], v[20:21]
	v_add_f64 v[30:31], v[28:29], -v[64:65]
	v_add_f64 v[22:23], v[28:29], v[22:23]
	v_add_f64 v[32:33], v[28:29], -v[30:31]
	;; [unrolled: 2-line block ×3, first 2 shown]
	v_add_f64 v[20:21], v[20:21], -v[30:31]
	v_add_f64 v[26:27], v[28:29], -v[26:27]
	v_add_f64 v[20:21], v[20:21], v[32:33]
	v_add_f64 v[22:23], v[22:23], -v[26:27]
	v_add_f64 v[20:21], v[20:21], v[22:23]
	v_add_f64 v[22:23], v[28:29], v[20:21]
	v_add_f64 v[26:27], v[22:23], -v[28:29]
	v_add_f64 v[20:21], v[20:21], -v[26:27]
	v_mul_f64 v[26:27], v[46:47], v[22:23]
	v_fma_f64 v[22:23], v[46:47], v[22:23], -v[26:27]
	v_fmac_f64_e32 v[22:23], v[46:47], v[20:21]
	v_add_f64 v[20:21], v[26:27], v[22:23]
	v_cmp_class_f64_e64 s[0:1], v[26:27], s56
	v_cndmask_b32_e64 v57, v21, v27, s[0:1]
	v_cndmask_b32_e64 v56, v20, v26, s[0:1]
	v_add_f64 v[28:29], v[20:21], -v[26:27]
	v_mul_f64 v[20:21], v[56:57], s[44:45]
	v_rndne_f64_e32 v[60:61], v[20:21]
	v_add_f64 v[22:23], v[22:23], -v[28:29]
	v_cmp_neq_f64_e64 s[0:1], |v[56:57]|, s[40:41]
	v_fma_f64 v[64:65], s[46:47], v[60:61], v[56:57]
	v_mov_b32_e32 v20, 0xfca7ab0c
	v_mov_b32_e32 v21, 0x3e928af3
	v_cndmask_b32_e64 v59, 0, v23, s[0:1]
	v_cndmask_b32_e64 v58, 0, v22, s[0:1]
	v_fmac_f64_e32 v[64:65], s[48:49], v[60:61]
	v_pk_mov_b32 v[26:27], v[20:21], v[20:21] op_sel:[0,1]
	v_mov_b32_e32 v22, 0x623fde64
	v_mov_b32_e32 v23, 0x3ec71dee
	v_fmac_f64_e32 v[26:27], s[50:51], v[64:65]
	v_pk_mov_b32 v[28:29], v[22:23], v[22:23] op_sel:[0,1]
	v_fmac_f64_e32 v[28:29], v[64:65], v[26:27]
	v_mul_f64 v[26:27], v[46:47], 0.5
	v_trunc_f64_e32 v[30:31], v[26:27]
	v_cmp_neq_f64_e64 s[4:5], v[30:31], v[26:27]
	v_mov_b32_e32 v26, 0x7c89e6b0
	v_mov_b32_e32 v27, 0x3efa0199
	v_pk_mov_b32 v[30:31], v[26:27], v[26:27] op_sel:[0,1]
	v_fmac_f64_e32 v[30:31], v[64:65], v[28:29]
	v_mov_b32_e32 v28, 0x14761f6e
	v_mov_b32_e32 v29, 0x3f2a01a0
	v_pk_mov_b32 v[32:33], v[28:29], v[28:29] op_sel:[0,1]
	v_fmac_f64_e32 v[32:33], v[64:65], v[30:31]
	;; [unrolled: 4-line block ×7, first 2 shown]
	v_fma_f64 v[66:67], v[64:65], v[68:69], 1.0
	v_fma_f64 v[64:65], v[64:65], v[66:67], 1.0
	v_cvt_i32_f64_e32 v1, v[60:61]
	v_ldexp_f64 v[60:61], v[64:65], v1
	v_cmp_lt_f64_e64 s[0:1], s[52:53], v[56:57]
	v_cndmask_b32_e64 v1, v60, 0, s[0:1]
	v_cndmask_b32_e64 v64, v61, v63, s[0:1]
	v_cmp_ngt_f64_e64 s[6:7], s[54:55], v[56:57]
	v_and_b32_e32 v61, 0x7fffffff, v61
	v_cndmask_b32_e64 v57, 0, v64, s[6:7]
	v_cndmask_b32_e64 v56, 0, v1, s[6:7]
	v_cmp_eq_f64_e64 s[8:9], s[40:41], v[60:61]
	v_pk_mov_b32 v[64:65], v[56:57], v[56:57] op_sel:[0,1]
	s_or_b64 s[0:1], s[0:1], s[8:9]
	v_fmac_f64_e32 v[64:65], v[64:65], v[58:59]
	s_and_b64 s[0:1], s[6:7], s[0:1]
	v_ashrrev_i32_e32 v59, 31, v24
	v_cndmask_b32_e64 v1, v64, v56, s[0:1]
	v_cndmask_b32_e64 v58, v65, v57, s[0:1]
	v_mul_lo_u32 v60, v24, s43
	v_mul_lo_u32 v61, v59, s42
	v_mad_u64_u32 v[56:57], s[0:1], v24, s42, 0
	v_add3_u32 v57, v57, v60, v61
	v_lshlrev_b64 v[56:57], 3, v[56:57]
	v_mov_b32_e32 v60, s17
	v_add_co_u32_e64 v61, s[0:1], s16, v56
	v_addc_co_u32_e64 v60, s[0:1], v60, v57, s[0:1]
	v_mul_lo_u32 v64, v41, s36
	v_mul_lo_u32 v65, v40, s37
	v_mad_u64_u32 v[56:57], s[0:1], v40, s36, 0
	v_add3_u32 v57, v57, v65, v64
	v_lshlrev_b64 v[56:57], 3, v[56:57]
	v_add_co_u32_e64 v64, s[0:1], v61, v56
	v_addc_co_u32_e64 v65, s[0:1], v60, v57, s[0:1]
	v_mov_b32_e32 v56, s13
	v_add_co_u32_e64 v57, s[0:1], s12, v54
	v_addc_co_u32_e64 v56, s[0:1], v56, v55, s[0:1]
	v_mul_lo_u32 v60, v41, s26
	v_mul_lo_u32 v61, v40, s27
	v_mad_u64_u32 v[54:55], s[0:1], v40, s26, 0
	v_add3_u32 v55, v55, v61, v60
	v_sub_co_u32_e64 v60, s[0:1], v25, v54
	v_subb_co_u32_e64 v48, s[0:1], v48, v55, s[0:1]
	v_mad_u64_u32 v[40:41], s[0:1], v60, s24, v[40:41]
	v_mul_lo_u32 v25, v60, s25
	v_mul_lo_u32 v54, v48, s24
	v_add3_u32 v25, v54, v41, v25
	v_mul_lo_u32 v25, v25, s36
	v_mul_lo_u32 v54, v40, s37
	v_mad_u64_u32 v[40:41], s[0:1], v40, s36, 0
	v_add3_u32 v41, v41, v54, v25
	v_lshlrev_b64 v[54:55], 3, v[40:41]
	global_load_dwordx2 v[40:41], v[52:53], off
	v_add_co_u32_e64 v66, s[0:1], v57, v54
	v_addc_co_u32_e64 v67, s[0:1], v56, v55, s[0:1]
	v_mul_lo_u32 v52, v59, s38
	v_mul_lo_u32 v53, v24, s39
	v_mad_u64_u32 v[24:25], s[0:1], v24, s38, 0
	v_add3_u32 v25, v25, v53, v52
	v_lshlrev_b64 v[24:25], 3, v[24:25]
	v_mov_b32_e32 v52, s19
	v_add_co_u32_e64 v53, s[0:1], s18, v24
	v_addc_co_u32_e64 v52, s[0:1], v52, v25, s[0:1]
	v_mul_lo_u32 v48, v48, s36
	v_mul_lo_u32 v54, v60, s37
	v_mad_u64_u32 v[24:25], s[0:1], v60, s36, 0
	v_add3_u32 v25, v25, v54, v48
	v_lshlrev_b64 v[24:25], 3, v[24:25]
	v_add_co_u32_e64 v68, s[0:1], v53, v24
	v_addc_co_u32_e64 v69, s[0:1], v52, v25, s[0:1]
	v_trunc_f64_e32 v[24:25], v[46:47]
	v_cndmask_b32_e64 v49, v45, v62, s[2:3]
	v_cndmask_b32_e64 v48, v44, 0, s[2:3]
	v_cmp_eq_f64_e64 s[2:3], v[24:25], v[46:47]
	s_and_b64 s[4:5], s[2:3], s[4:5]
	s_brev_b32 s6, -2
	v_cndmask_b32_e64 v25, v62, v49, s[4:5]
	v_bfi_b32 v25, s6, v58, v25
	v_mov_b32_e32 v70, 0x7ff80000
	v_cmp_neq_f64_e64 s[0:1], 0, v[44:45]
	v_cndmask_b32_e64 v24, 0, v1, s[2:3]
	v_cndmask_b32_e64 v44, v70, v25, s[2:3]
	v_cmp_gt_f64_e64 s[2:3], 0, v[48:49]
	v_cndmask_b32_e64 v1, v1, v24, s[2:3]
	v_and_b32_e32 v24, 0x7fffffff, v43
	v_cndmask_b32_e64 v42, v42, 0, vcc
	v_cndmask_b32_e32 v43, v24, v62, vcc
	v_cndmask_b32_e64 v44, v25, v44, s[2:3]
	v_cmp_neq_f64_e32 vcc, v[46:47], v[42:43]
	v_cmp_gt_f64_e64 s[2:3], 1.0, v[50:51]
	s_xor_b64 s[2:3], vcc, s[2:3]
	v_cndmask_b32_e64 v24, v42, 0, s[2:3]
	v_cndmask_b32_e64 v25, v43, 0, s[2:3]
	v_cmp_eq_f64_e32 vcc, 1.0, v[50:51]
	s_lshl_b64 s[2:3], s[36:37], 3
	v_cndmask_b32_e32 v45, v25, v51, vcc
	v_cndmask_b32_e32 v52, v24, v50, vcc
	v_mov_b32_e32 v25, s3
	v_add_co_u32_e32 v24, vcc, s2, v64
	v_addc_co_u32_e32 v25, vcc, v65, v25, vcc
	v_cmp_eq_f64_e32 vcc, s[40:41], v[42:43]
	v_cndmask_b32_e32 v1, v1, v52, vcc
	v_cndmask_b32_e32 v44, v44, v45, vcc
	v_cmp_gt_f64_e32 vcc, 0, v[46:47]
	v_cndmask_b32_e64 v42, v63, 0, vcc
	v_cndmask_b32_e64 v43, 0, v49, s[4:5]
	v_bfi_b32 v45, s6, v42, v43
	v_add_co_u32_e32 v42, vcc, v64, v18
	v_addc_co_u32_e32 v43, vcc, v65, v19, vcc
	s_waitcnt lgkmcnt(0)
	s_mul_i32 s2, s57, s33
	v_cmp_eq_f64_e32 vcc, s[40:41], v[50:51]
	v_cndmask_b32_e32 v50, v44, v45, vcc
	v_cndmask_b32_e64 v1, v1, 0, vcc
	v_cmp_o_f64_e32 vcc, v[48:49], v[46:47]
	s_ashr_i32 s3, s2, 31
	s_mov_b64 s[8:9], 0
	v_add_f64 v[44:45], s[22:23], -2.0
	v_cndmask_b32_e32 v46, 0, v1, vcc
	v_cndmask_b32_e32 v47, v70, v50, vcc
	s_lshl_b64 s[12:13], s[2:3], 3
	s_branch .LBB30_12
.LBB30_11:                              ;   in Loop: Header=BB30_12 Depth=1
	s_or_b64 exec, exec, s[16:17]
	v_add_co_u32_e32 v50, vcc, v66, v18
	v_addc_co_u32_e32 v51, vcc, v67, v19, vcc
	v_mov_b32_e32 v1, s13
	v_add_co_u32_e32 v42, vcc, s12, v42
	v_addc_co_u32_e32 v43, vcc, v43, v1, vcc
	v_cmp_ge_u64_e32 vcc, v[42:43], v[24:25]
	s_or_b64 s[8:9], vcc, s[8:9]
	v_add_co_u32_e32 v18, vcc, s12, v18
	v_addc_co_u32_e32 v19, vcc, v19, v1, vcc
	global_store_dwordx2 v[50:51], v[48:49], off
	s_andn2_b64 exec, exec, s[8:9]
	s_cbranch_execz .LBB30_14
.LBB30_12:                              ; =>This Inner Loop Header: Depth=1
	v_pk_mov_b32 v[48:49], 0, 0
	s_and_saveexec_b64 s[16:17], s[0:1]
	s_cbranch_execz .LBB30_11
; %bb.13:                               ;   in Loop: Header=BB30_12 Depth=1
	v_add_co_u32_e32 v48, vcc, v68, v18
	v_addc_co_u32_e32 v49, vcc, v69, v19, vcc
	v_add_co_u32_e32 v50, vcc, v64, v18
	v_addc_co_u32_e32 v51, vcc, v65, v19, vcc
	global_load_dwordx2 v[52:53], v[50:51], off
	global_load_dwordx2 v[54:55], v[48:49], off
	s_mov_b32 s14, s10
	s_mov_b32 s46, s28
	s_mov_b32 s48, s30
	s_waitcnt vmcnt(0)
	v_add_f64 v[48:49], v[52:53], -v[54:55]
	v_cmp_eq_f64_e64 vcc, |v[48:49]|, 1.0
	v_cndmask_b32_e32 v51, v45, v62, vcc
	v_cndmask_b32_e64 v50, v44, 0, vcc
	v_and_b32_e32 v1, 0x7fffffff, v49
	v_cmp_neq_f64_e64 s[2:3], 0, v[50:51]
	v_cndmask_b32_e64 v53, v62, v1, s[2:3]
	v_cndmask_b32_e64 v52, 0, v48, s[2:3]
	v_frexp_mant_f64_e32 v[54:55], v[52:53]
	v_cmp_gt_f64_e64 s[2:3], s[10:11], v[54:55]
	v_cndmask_b32_e64 v1, v62, 2.0, s[2:3]
	v_mul_f64 v[54:55], v[54:55], v[0:1]
	v_add_f64 v[56:57], v[54:55], 1.0
	v_rcp_f64_e32 v[58:59], v[56:57]
	v_frexp_exp_i32_f64_e32 v1, v[52:53]
	v_subbrev_co_u32_e64 v1, s[2:3], 0, v1, s[2:3]
	v_fma_f64 v[60:61], -v[56:57], v[58:59], 1.0
	v_fmac_f64_e32 v[58:59], v[60:61], v[58:59]
	v_fma_f64 v[60:61], -v[56:57], v[58:59], 1.0
	v_fmac_f64_e32 v[58:59], v[60:61], v[58:59]
	v_add_f64 v[60:61], v[56:57], -1.0
	v_add_f64 v[60:61], v[54:55], -v[60:61]
	v_add_f64 v[54:55], v[54:55], -1.0
	v_mul_f64 v[72:73], v[54:55], v[58:59]
	v_mul_f64 v[74:75], v[56:57], v[72:73]
	v_fma_f64 v[56:57], v[72:73], v[56:57], -v[74:75]
	v_fmac_f64_e32 v[56:57], v[72:73], v[60:61]
	v_add_f64 v[60:61], v[74:75], v[56:57]
	v_add_f64 v[74:75], v[60:61], -v[74:75]
	v_add_f64 v[56:57], v[74:75], -v[56:57]
	;; [unrolled: 1-line block ×5, first 2 shown]
	v_add_f64 v[54:55], v[56:57], v[54:55]
	v_add_f64 v[54:55], v[74:75], v[54:55]
	v_mul_f64 v[54:55], v[58:59], v[54:55]
	v_add_f64 v[56:57], v[72:73], v[54:55]
	v_add_f64 v[58:59], v[56:57], -v[72:73]
	v_add_f64 v[54:55], v[54:55], -v[58:59]
	v_mul_f64 v[60:61], v[56:57], v[56:57]
	v_fma_f64 v[72:73], v[56:57], v[56:57], -v[60:61]
	v_add_f64 v[58:59], v[54:55], v[54:55]
	v_fmac_f64_e32 v[72:73], v[56:57], v[58:59]
	v_add_f64 v[58:59], v[60:61], v[72:73]
	v_add_f64 v[60:61], v[58:59], -v[60:61]
	v_add_f64 v[60:61], v[72:73], -v[60:61]
	v_pk_mov_b32 v[72:73], v[2:3], v[2:3] op_sel:[0,1]
	v_fmac_f64_e32 v[72:73], s[20:21], v[58:59]
	v_pk_mov_b32 v[74:75], v[4:5], v[4:5] op_sel:[0,1]
	v_fmac_f64_e32 v[74:75], v[58:59], v[72:73]
	;; [unrolled: 2-line block ×8, first 2 shown]
	v_mul_f64 v[72:73], v[56:57], v[58:59]
	v_fma_f64 v[76:77], v[58:59], v[56:57], -v[72:73]
	v_mul_f64 v[78:79], v[58:59], v[74:75]
	v_fmac_f64_e32 v[76:77], v[58:59], v[54:55]
	v_fma_f64 v[58:59], v[58:59], v[74:75], -v[78:79]
	v_fmac_f64_e32 v[58:59], v[60:61], v[74:75]
	v_fmac_f64_e32 v[76:77], v[60:61], v[56:57]
	v_add_f64 v[60:61], v[78:79], v[58:59]
	v_add_f64 v[74:75], v[60:61], -v[78:79]
	v_add_f64 v[58:59], v[58:59], -v[74:75]
	v_add_f64 v[74:75], v[60:61], s[10:11]
	v_add_f64 v[78:79], v[74:75], s[14:15]
	v_add_f64 v[60:61], v[60:61], -v[78:79]
	v_add_f64 v[58:59], v[58:59], s[34:35]
	v_add_f64 v[58:59], v[58:59], v[60:61]
	;; [unrolled: 1-line block ×3, first 2 shown]
	v_add_f64 v[74:75], v[74:75], -v[60:61]
	v_add_f64 v[58:59], v[58:59], v[74:75]
	v_add_f64 v[74:75], v[72:73], v[76:77]
	v_mul_f64 v[78:79], v[74:75], v[60:61]
	v_fma_f64 v[80:81], v[74:75], v[60:61], -v[78:79]
	v_fmac_f64_e32 v[80:81], v[74:75], v[58:59]
	v_add_f64 v[58:59], v[74:75], -v[72:73]
	v_add_f64 v[58:59], v[76:77], -v[58:59]
	v_fmac_f64_e32 v[80:81], v[58:59], v[60:61]
	v_cvt_f64_i32_e32 v[58:59], v1
	v_mul_f64 v[60:61], v[58:59], s[28:29]
	v_fma_f64 v[72:73], v[58:59], s[28:29], -v[60:61]
	v_fmac_f64_e32 v[72:73], s[30:31], v[58:59]
	v_add_f64 v[58:59], v[60:61], v[72:73]
	v_add_f64 v[60:61], v[58:59], -v[60:61]
	v_add_f64 v[60:61], v[72:73], -v[60:61]
	v_add_f64 v[72:73], v[78:79], v[80:81]
	v_ldexp_f64 v[56:57], v[56:57], 1
	v_add_f64 v[74:75], v[72:73], -v[78:79]
	v_add_f64 v[76:77], v[56:57], v[72:73]
	v_add_f64 v[74:75], v[80:81], -v[74:75]
	v_add_f64 v[56:57], v[76:77], -v[56:57]
	v_ldexp_f64 v[54:55], v[54:55], 1
	v_add_f64 v[56:57], v[72:73], -v[56:57]
	v_add_f64 v[54:55], v[54:55], v[74:75]
	v_add_f64 v[54:55], v[54:55], v[56:57]
	;; [unrolled: 1-line block ×3, first 2 shown]
	v_add_f64 v[72:73], v[56:57], -v[76:77]
	v_add_f64 v[54:55], v[54:55], -v[72:73]
	v_add_f64 v[72:73], v[58:59], v[56:57]
	v_add_f64 v[74:75], v[72:73], -v[58:59]
	v_add_f64 v[56:57], v[56:57], -v[74:75]
	;; [unrolled: 1-line block ×4, first 2 shown]
	v_add_f64 v[56:57], v[56:57], v[58:59]
	v_add_f64 v[58:59], v[60:61], v[54:55]
	v_add_f64 v[74:75], v[58:59], -v[60:61]
	v_add_f64 v[54:55], v[54:55], -v[74:75]
	;; [unrolled: 1-line block ×3, first 2 shown]
	v_add_f64 v[56:57], v[58:59], v[56:57]
	v_add_f64 v[60:61], v[60:61], -v[74:75]
	v_add_f64 v[58:59], v[72:73], v[56:57]
	v_add_f64 v[54:55], v[54:55], v[60:61]
	v_add_f64 v[60:61], v[58:59], -v[72:73]
	v_add_f64 v[56:57], v[56:57], -v[60:61]
	v_add_f64 v[54:55], v[54:55], v[56:57]
	v_add_f64 v[56:57], v[58:59], v[54:55]
	v_add_f64 v[58:59], v[56:57], -v[58:59]
	v_add_f64 v[54:55], v[54:55], -v[58:59]
	v_mul_f64 v[58:59], v[50:51], v[56:57]
	v_fma_f64 v[60:61], v[50:51], v[56:57], -v[58:59]
	v_fmac_f64_e32 v[60:61], v[50:51], v[54:55]
	v_cmp_class_f64_e64 s[2:3], v[58:59], s56
	v_add_f64 v[54:55], v[58:59], v[60:61]
	v_cndmask_b32_e64 v57, v55, v59, s[2:3]
	v_cndmask_b32_e64 v56, v54, v58, s[2:3]
	v_add_f64 v[54:55], v[54:55], -v[58:59]
	v_mul_f64 v[58:59], v[56:57], s[44:45]
	v_rndne_f64_e32 v[58:59], v[58:59]
	v_add_f64 v[54:55], v[60:61], -v[54:55]
	v_fma_f64 v[60:61], s[46:47], v[58:59], v[56:57]
	v_fmac_f64_e32 v[60:61], s[48:49], v[58:59]
	v_pk_mov_b32 v[72:73], v[20:21], v[20:21] op_sel:[0,1]
	v_fmac_f64_e32 v[72:73], s[50:51], v[60:61]
	v_pk_mov_b32 v[74:75], v[22:23], v[22:23] op_sel:[0,1]
	;; [unrolled: 2-line block ×9, first 2 shown]
	v_fmac_f64_e32 v[72:73], v[60:61], v[74:75]
	v_fma_f64 v[72:73], v[60:61], v[72:73], 1.0
	v_cmp_neq_f64_e64 s[2:3], |v[56:57]|, s[40:41]
	v_fma_f64 v[60:61], v[60:61], v[72:73], 1.0
	v_cvt_i32_f64_e32 v1, v[58:59]
	v_cndmask_b32_e64 v55, 0, v55, s[2:3]
	v_cndmask_b32_e64 v54, 0, v54, s[2:3]
	v_cmp_lt_f64_e64 s[2:3], s[52:53], v[56:57]
	v_cmp_ngt_f64_e64 s[4:5], s[54:55], v[56:57]
	v_ldexp_f64 v[56:57], v[60:61], v1
	v_cndmask_b32_e64 v1, v56, 0, s[2:3]
	v_cndmask_b32_e64 v58, v57, v63, s[2:3]
	;; [unrolled: 1-line block ×4, first 2 shown]
	v_and_b32_e32 v57, 0x7fffffff, v57
	v_pk_mov_b32 v[60:61], v[58:59], v[58:59] op_sel:[0,1]
	v_cmp_eq_f64_e64 s[6:7], s[40:41], v[56:57]
	v_fmac_f64_e32 v[60:61], v[60:61], v[54:55]
	s_or_b64 s[2:3], s[2:3], s[6:7]
	v_and_b32_e32 v54, 0x7fffffff, v45
	s_and_b64 s[2:3], s[4:5], s[2:3]
	v_cndmask_b32_e32 v55, v54, v62, vcc
	v_cndmask_b32_e64 v54, v44, 0, vcc
	v_cndmask_b32_e64 v1, v61, v59, s[2:3]
	v_cndmask_b32_e64 v56, v60, v58, s[2:3]
	v_cmp_neq_f64_e32 vcc, v[50:51], v[54:55]
	v_cmp_gt_f64_e64 s[2:3], 1.0, v[52:53]
	s_xor_b64 s[2:3], vcc, s[2:3]
	v_cmp_eq_f64_e32 vcc, s[40:41], v[54:55]
	v_cndmask_b32_e64 v55, v55, 0, s[2:3]
	v_cndmask_b32_e64 v54, v54, 0, s[2:3]
	v_cmp_eq_f64_e64 s[2:3], 1.0, v[52:53]
	v_and_b32_e32 v1, 0x7fffffff, v1
	v_cndmask_b32_e64 v54, v54, v52, s[2:3]
	v_cndmask_b32_e64 v55, v55, v53, s[2:3]
	v_cmp_eq_f64_e64 s[2:3], 0, v[52:53]
	v_cmp_gt_f64_e64 s[4:5], 0, v[50:51]
	v_cndmask_b32_e32 v1, v1, v55, vcc
	v_cndmask_b32_e32 v54, v56, v54, vcc
	v_cmp_eq_f64_e32 vcc, s[40:41], v[52:53]
	s_xor_b64 s[4:5], s[4:5], s[2:3]
	v_cndmask_b32_e64 v55, v63, 0, s[4:5]
	s_or_b64 vcc, vcc, s[2:3]
	v_cndmask_b32_e64 v54, v54, 0, vcc
	v_cndmask_b32_e32 v1, v1, v55, vcc
	v_cmp_o_f64_e32 vcc, v[52:53], v[50:51]
	v_cndmask_b32_e32 v51, v70, v1, vcc
	v_cndmask_b32_e32 v50, 0, v54, vcc
	v_mul_f64 v[48:49], v[48:49], v[50:51]
	v_mul_f64 v[48:49], v[40:41], v[48:49]
	v_div_scale_f64 v[50:51], s[2:3], v[46:47], v[46:47], v[48:49]
	v_rcp_f64_e32 v[52:53], v[50:51]
	v_fma_f64 v[54:55], -v[50:51], v[52:53], 1.0
	v_fmac_f64_e32 v[52:53], v[52:53], v[54:55]
	v_fma_f64 v[54:55], -v[50:51], v[52:53], 1.0
	v_fmac_f64_e32 v[52:53], v[52:53], v[54:55]
	v_div_scale_f64 v[54:55], vcc, v[48:49], v[46:47], v[48:49]
	v_mul_f64 v[56:57], v[54:55], v[52:53]
	v_fma_f64 v[50:51], -v[50:51], v[56:57], v[54:55]
	s_nop 1
	v_div_fmas_f64 v[50:51], v[50:51], v[52:53], v[56:57]
	v_div_fixup_f64 v[48:49], v[50:51], v[46:47], v[48:49]
	s_branch .LBB30_11
.LBB30_14:
	s_endpgm
	.section	.rodata,"a",@progbits
	.p2align	6, 0x0
	.amdhsa_kernel _ZN2at6native12_GLOBAL__N_131cdist_backward_kernel_cuda_implIdNS1_5distsIdE1pEEEvPT_PKS6_S9_S9_S9_S6_lllllll
		.amdhsa_group_segment_fixed_size 0
		.amdhsa_private_segment_fixed_size 0
		.amdhsa_kernarg_size 360
		.amdhsa_user_sgpr_count 6
		.amdhsa_user_sgpr_private_segment_buffer 1
		.amdhsa_user_sgpr_dispatch_ptr 0
		.amdhsa_user_sgpr_queue_ptr 0
		.amdhsa_user_sgpr_kernarg_segment_ptr 1
		.amdhsa_user_sgpr_dispatch_id 0
		.amdhsa_user_sgpr_flat_scratch_init 0
		.amdhsa_user_sgpr_kernarg_preload_length 0
		.amdhsa_user_sgpr_kernarg_preload_offset 0
		.amdhsa_user_sgpr_private_segment_size 0
		.amdhsa_uses_dynamic_stack 0
		.amdhsa_system_sgpr_private_segment_wavefront_offset 0
		.amdhsa_system_sgpr_workgroup_id_x 1
		.amdhsa_system_sgpr_workgroup_id_y 1
		.amdhsa_system_sgpr_workgroup_id_z 1
		.amdhsa_system_sgpr_workgroup_info 0
		.amdhsa_system_vgpr_workitem_id 1
		.amdhsa_next_free_vgpr 82
		.amdhsa_next_free_sgpr 58
		.amdhsa_accum_offset 84
		.amdhsa_reserve_vcc 1
		.amdhsa_reserve_flat_scratch 0
		.amdhsa_float_round_mode_32 0
		.amdhsa_float_round_mode_16_64 0
		.amdhsa_float_denorm_mode_32 3
		.amdhsa_float_denorm_mode_16_64 3
		.amdhsa_dx10_clamp 1
		.amdhsa_ieee_mode 1
		.amdhsa_fp16_overflow 0
		.amdhsa_tg_split 0
		.amdhsa_exception_fp_ieee_invalid_op 0
		.amdhsa_exception_fp_denorm_src 0
		.amdhsa_exception_fp_ieee_div_zero 0
		.amdhsa_exception_fp_ieee_overflow 0
		.amdhsa_exception_fp_ieee_underflow 0
		.amdhsa_exception_fp_ieee_inexact 0
		.amdhsa_exception_int_div_zero 0
	.end_amdhsa_kernel
	.section	.text._ZN2at6native12_GLOBAL__N_131cdist_backward_kernel_cuda_implIdNS1_5distsIdE1pEEEvPT_PKS6_S9_S9_S9_S6_lllllll,"axG",@progbits,_ZN2at6native12_GLOBAL__N_131cdist_backward_kernel_cuda_implIdNS1_5distsIdE1pEEEvPT_PKS6_S9_S9_S9_S6_lllllll,comdat
.Lfunc_end30:
	.size	_ZN2at6native12_GLOBAL__N_131cdist_backward_kernel_cuda_implIdNS1_5distsIdE1pEEEvPT_PKS6_S9_S9_S9_S6_lllllll, .Lfunc_end30-_ZN2at6native12_GLOBAL__N_131cdist_backward_kernel_cuda_implIdNS1_5distsIdE1pEEEvPT_PKS6_S9_S9_S9_S6_lllllll
                                        ; -- End function
	.section	.AMDGPU.csdata,"",@progbits
; Kernel info:
; codeLenInByte = 6000
; NumSgprs: 62
; NumVgprs: 82
; NumAgprs: 0
; TotalNumVgprs: 82
; ScratchSize: 0
; MemoryBound: 0
; FloatMode: 240
; IeeeMode: 1
; LDSByteSize: 0 bytes/workgroup (compile time only)
; SGPRBlocks: 7
; VGPRBlocks: 10
; NumSGPRsForWavesPerEU: 62
; NumVGPRsForWavesPerEU: 82
; AccumOffset: 84
; Occupancy: 5
; WaveLimiterHint : 0
; COMPUTE_PGM_RSRC2:SCRATCH_EN: 0
; COMPUTE_PGM_RSRC2:USER_SGPR: 6
; COMPUTE_PGM_RSRC2:TRAP_HANDLER: 0
; COMPUTE_PGM_RSRC2:TGID_X_EN: 1
; COMPUTE_PGM_RSRC2:TGID_Y_EN: 1
; COMPUTE_PGM_RSRC2:TGID_Z_EN: 1
; COMPUTE_PGM_RSRC2:TIDIG_COMP_CNT: 1
; COMPUTE_PGM_RSRC3_GFX90A:ACCUM_OFFSET: 20
; COMPUTE_PGM_RSRC3_GFX90A:TG_SPLIT: 0
	.section	.text._ZN2at6native12_GLOBAL__N_131cdist_backward_kernel_cuda_implIdNS1_5distsIdE3oneEEEvPT_PKS6_S9_S9_S9_S6_lllllll,"axG",@progbits,_ZN2at6native12_GLOBAL__N_131cdist_backward_kernel_cuda_implIdNS1_5distsIdE3oneEEEvPT_PKS6_S9_S9_S9_S6_lllllll,comdat
	.globl	_ZN2at6native12_GLOBAL__N_131cdist_backward_kernel_cuda_implIdNS1_5distsIdE3oneEEEvPT_PKS6_S9_S9_S9_S6_lllllll ; -- Begin function _ZN2at6native12_GLOBAL__N_131cdist_backward_kernel_cuda_implIdNS1_5distsIdE3oneEEEvPT_PKS6_S9_S9_S9_S6_lllllll
	.p2align	8
	.type	_ZN2at6native12_GLOBAL__N_131cdist_backward_kernel_cuda_implIdNS1_5distsIdE3oneEEEvPT_PKS6_S9_S9_S9_S6_lllllll,@function
_ZN2at6native12_GLOBAL__N_131cdist_backward_kernel_cuda_implIdNS1_5distsIdE3oneEEEvPT_PKS6_S9_S9_S9_S6_lllllll: ; @_ZN2at6native12_GLOBAL__N_131cdist_backward_kernel_cuda_implIdNS1_5distsIdE3oneEEEvPT_PKS6_S9_S9_S9_S6_lllllll
; %bb.0:
	s_load_dwordx2 s[0:1], s[4:5], 0x70
	s_load_dwordx8 s[12:19], s[4:5], 0x30
	s_add_u32 s2, s4, 0x68
	s_addc_u32 s3, s5, 0
	v_bfe_u32 v1, v0, 10, 10
	s_waitcnt lgkmcnt(0)
	s_mul_i32 s0, s0, s7
	s_add_i32 s0, s0, s8
	s_lshr_b32 s7, s1, 16
	s_mul_i32 s0, s0, s7
	v_add_u32_e32 v2, s0, v1
	v_ashrrev_i32_e32 v3, 31, v2
	v_cmp_gt_i64_e32 vcc, s[18:19], v[2:3]
	s_and_saveexec_b64 s[8:9], vcc
	s_cbranch_execz .LBB31_12
; %bb.1:
	s_load_dwordx8 s[20:27], s[4:5], 0x50
	s_and_b32 s18, s1, 0xffff
	s_mul_i32 s6, s6, s18
	v_and_b32_e32 v0, 0x3ff, v0
	v_add_u32_e32 v0, s6, v0
	v_ashrrev_i32_e32 v1, 31, v0
	v_cmp_gt_i64_e32 vcc, s[16:17], v[0:1]
	s_and_b64 exec, exec, vcc
	s_cbranch_execz .LBB31_12
; %bb.2:
	s_waitcnt lgkmcnt(0)
	v_or_b32_e32 v5, s21, v3
	v_mov_b32_e32 v4, 0
	v_cmp_ne_u64_e32 vcc, 0, v[4:5]
                                        ; implicit-def: $vgpr4_vgpr5
	s_and_saveexec_b64 s[0:1], vcc
	s_xor_b64 s[6:7], exec, s[0:1]
	s_cbranch_execz .LBB31_4
; %bb.3:
	s_ashr_i32 s8, s21, 31
	s_add_u32 s0, s20, s8
	s_mov_b32 s9, s8
	s_addc_u32 s1, s21, s8
	s_xor_b64 s[10:11], s[0:1], s[8:9]
	v_cvt_f32_u32_e32 v4, s10
	v_cvt_f32_u32_e32 v5, s11
	s_sub_u32 s0, 0, s10
	s_subb_u32 s1, 0, s11
	v_madmk_f32 v4, v5, 0x4f800000, v4
	v_rcp_f32_e32 v4, v4
	v_mul_f32_e32 v4, 0x5f7ffffc, v4
	v_mul_f32_e32 v5, 0x2f800000, v4
	v_trunc_f32_e32 v5, v5
	v_madmk_f32 v4, v5, 0xcf800000, v4
	v_cvt_u32_f32_e32 v5, v5
	v_cvt_u32_f32_e32 v4, v4
	v_mul_lo_u32 v6, s0, v5
	v_mul_hi_u32 v8, s0, v4
	v_mul_lo_u32 v7, s1, v4
	v_add_u32_e32 v6, v8, v6
	v_mul_lo_u32 v9, s0, v4
	v_add_u32_e32 v6, v6, v7
	v_mul_lo_u32 v8, v4, v6
	v_mul_hi_u32 v10, v4, v9
	v_mul_hi_u32 v7, v4, v6
	v_add_co_u32_e32 v8, vcc, v10, v8
	v_addc_co_u32_e32 v7, vcc, 0, v7, vcc
	v_mul_hi_u32 v11, v5, v9
	v_mul_lo_u32 v9, v5, v9
	v_add_co_u32_e32 v8, vcc, v8, v9
	v_mul_hi_u32 v10, v5, v6
	v_addc_co_u32_e32 v7, vcc, v7, v11, vcc
	v_addc_co_u32_e32 v8, vcc, 0, v10, vcc
	v_mul_lo_u32 v6, v5, v6
	v_add_co_u32_e32 v6, vcc, v7, v6
	v_addc_co_u32_e32 v7, vcc, 0, v8, vcc
	v_add_co_u32_e32 v4, vcc, v4, v6
	v_addc_co_u32_e32 v5, vcc, v5, v7, vcc
	v_mul_lo_u32 v6, s0, v5
	v_mul_hi_u32 v7, s0, v4
	v_add_u32_e32 v6, v7, v6
	v_mul_lo_u32 v7, s1, v4
	v_add_u32_e32 v6, v6, v7
	v_mul_lo_u32 v8, s0, v4
	v_mul_hi_u32 v9, v5, v8
	v_mul_lo_u32 v10, v5, v8
	v_mul_lo_u32 v12, v4, v6
	v_mul_hi_u32 v8, v4, v8
	v_mul_hi_u32 v11, v4, v6
	v_add_co_u32_e32 v8, vcc, v8, v12
	v_addc_co_u32_e32 v11, vcc, 0, v11, vcc
	v_add_co_u32_e32 v8, vcc, v8, v10
	v_mul_hi_u32 v7, v5, v6
	v_addc_co_u32_e32 v8, vcc, v11, v9, vcc
	v_addc_co_u32_e32 v7, vcc, 0, v7, vcc
	v_mul_lo_u32 v6, v5, v6
	v_add_co_u32_e32 v6, vcc, v8, v6
	v_addc_co_u32_e32 v7, vcc, 0, v7, vcc
	v_add_co_u32_e32 v6, vcc, v4, v6
	v_addc_co_u32_e32 v7, vcc, v5, v7, vcc
	v_ashrrev_i32_e32 v8, 31, v3
	v_add_co_u32_e32 v4, vcc, v2, v8
	v_addc_co_u32_e32 v5, vcc, v3, v8, vcc
	v_xor_b32_e32 v10, v4, v8
	v_xor_b32_e32 v9, v5, v8
	v_mad_u64_u32 v[4:5], s[0:1], v10, v7, 0
	v_mul_hi_u32 v11, v10, v6
	v_add_co_u32_e32 v11, vcc, v11, v4
	v_addc_co_u32_e32 v12, vcc, 0, v5, vcc
	v_mad_u64_u32 v[4:5], s[0:1], v9, v7, 0
	v_mad_u64_u32 v[6:7], s[0:1], v9, v6, 0
	v_add_co_u32_e32 v6, vcc, v11, v6
	v_addc_co_u32_e32 v6, vcc, v12, v7, vcc
	v_addc_co_u32_e32 v5, vcc, 0, v5, vcc
	v_add_co_u32_e32 v6, vcc, v6, v4
	v_addc_co_u32_e32 v7, vcc, 0, v5, vcc
	v_mul_lo_u32 v11, s11, v6
	v_mul_lo_u32 v12, s10, v7
	v_mad_u64_u32 v[4:5], s[0:1], s10, v6, 0
	v_add3_u32 v5, v5, v12, v11
	v_sub_u32_e32 v11, v9, v5
	v_mov_b32_e32 v12, s11
	v_sub_co_u32_e32 v4, vcc, v10, v4
	v_subb_co_u32_e64 v10, s[0:1], v11, v12, vcc
	v_subrev_co_u32_e64 v11, s[0:1], s10, v4
	v_subbrev_co_u32_e64 v10, s[0:1], 0, v10, s[0:1]
	v_cmp_le_u32_e64 s[0:1], s11, v10
	v_cndmask_b32_e64 v12, 0, -1, s[0:1]
	v_cmp_le_u32_e64 s[0:1], s10, v11
	v_cndmask_b32_e64 v11, 0, -1, s[0:1]
	v_cmp_eq_u32_e64 s[0:1], s11, v10
	v_cndmask_b32_e64 v10, v12, v11, s[0:1]
	v_add_co_u32_e64 v11, s[0:1], 2, v6
	v_subb_co_u32_e32 v5, vcc, v9, v5, vcc
	v_addc_co_u32_e64 v12, s[0:1], 0, v7, s[0:1]
	v_cmp_le_u32_e32 vcc, s11, v5
	v_add_co_u32_e64 v13, s[0:1], 1, v6
	v_cndmask_b32_e64 v9, 0, -1, vcc
	v_cmp_le_u32_e32 vcc, s10, v4
	v_addc_co_u32_e64 v14, s[0:1], 0, v7, s[0:1]
	v_cndmask_b32_e64 v4, 0, -1, vcc
	v_cmp_eq_u32_e32 vcc, s11, v5
	v_cmp_ne_u32_e64 s[0:1], 0, v10
	v_cndmask_b32_e32 v4, v9, v4, vcc
	v_cndmask_b32_e64 v10, v14, v12, s[0:1]
	v_cmp_ne_u32_e32 vcc, 0, v4
	v_cndmask_b32_e64 v5, v13, v11, s[0:1]
	v_cndmask_b32_e32 v4, v7, v10, vcc
	v_cndmask_b32_e32 v5, v6, v5, vcc
	v_xor_b32_e32 v6, s8, v8
	v_xor_b32_e32 v7, v4, v6
	;; [unrolled: 1-line block ×3, first 2 shown]
	v_sub_co_u32_e32 v4, vcc, v4, v6
	v_subb_co_u32_e32 v5, vcc, v7, v6, vcc
.LBB31_4:
	s_andn2_saveexec_b64 s[0:1], s[6:7]
	s_cbranch_execz .LBB31_6
; %bb.5:
	v_cvt_f32_u32_e32 v4, s20
	s_sub_i32 s6, 0, s20
	v_rcp_iflag_f32_e32 v4, v4
	v_mul_f32_e32 v4, 0x4f7ffffe, v4
	v_cvt_u32_f32_e32 v4, v4
	v_mul_lo_u32 v5, s6, v4
	v_mul_hi_u32 v5, v4, v5
	v_add_u32_e32 v4, v4, v5
	v_mul_hi_u32 v4, v2, v4
	v_mul_lo_u32 v5, v4, s20
	v_sub_u32_e32 v5, v2, v5
	v_add_u32_e32 v6, 1, v4
	v_subrev_u32_e32 v7, s20, v5
	v_cmp_le_u32_e32 vcc, s20, v5
	v_cndmask_b32_e32 v5, v5, v7, vcc
	v_cndmask_b32_e32 v4, v4, v6, vcc
	v_add_u32_e32 v6, 1, v4
	v_cmp_le_u32_e32 vcc, s20, v5
	v_cndmask_b32_e32 v4, v4, v6, vcc
	v_mov_b32_e32 v5, 0
.LBB31_6:
	s_or_b64 exec, exec, s[0:1]
	v_mul_lo_u32 v5, v5, s20
	v_mul_lo_u32 v8, v4, s21
	v_mad_u64_u32 v[6:7], s[0:1], v4, s20, 0
	v_add3_u32 v7, v7, v8, v5
	v_sub_co_u32_e32 v5, vcc, v2, v6
	v_subb_co_u32_e32 v7, vcc, v3, v7, vcc
	v_or_b32_e32 v9, s15, v7
	v_mov_b32_e32 v8, 0
	v_cmp_ne_u64_e32 vcc, 0, v[8:9]
                                        ; implicit-def: $vgpr12_vgpr13
	s_and_saveexec_b64 s[0:1], vcc
	s_xor_b64 s[6:7], exec, s[0:1]
	s_cbranch_execz .LBB31_8
; %bb.7:
	s_ashr_i32 s8, s15, 31
	s_add_u32 s0, s14, s8
	s_mov_b32 s9, s8
	s_addc_u32 s1, s15, s8
	s_xor_b64 s[10:11], s[0:1], s[8:9]
	v_cvt_f32_u32_e32 v8, s10
	v_cvt_f32_u32_e32 v9, s11
	s_sub_u32 s0, 0, s10
	s_subb_u32 s1, 0, s11
	v_madmk_f32 v8, v9, 0x4f800000, v8
	v_rcp_f32_e32 v8, v8
	v_mul_f32_e32 v8, 0x5f7ffffc, v8
	v_mul_f32_e32 v9, 0x2f800000, v8
	v_trunc_f32_e32 v9, v9
	v_madmk_f32 v8, v9, 0xcf800000, v8
	v_cvt_u32_f32_e32 v9, v9
	v_cvt_u32_f32_e32 v8, v8
	v_mul_lo_u32 v10, s0, v9
	v_mul_hi_u32 v12, s0, v8
	v_mul_lo_u32 v11, s1, v8
	v_add_u32_e32 v10, v12, v10
	v_mul_lo_u32 v13, s0, v8
	v_add_u32_e32 v10, v10, v11
	v_mul_lo_u32 v12, v8, v10
	v_mul_hi_u32 v14, v8, v13
	v_mul_hi_u32 v11, v8, v10
	v_add_co_u32_e32 v12, vcc, v14, v12
	v_addc_co_u32_e32 v11, vcc, 0, v11, vcc
	v_mul_hi_u32 v15, v9, v13
	v_mul_lo_u32 v13, v9, v13
	v_add_co_u32_e32 v12, vcc, v12, v13
	v_mul_hi_u32 v14, v9, v10
	v_addc_co_u32_e32 v11, vcc, v11, v15, vcc
	v_addc_co_u32_e32 v12, vcc, 0, v14, vcc
	v_mul_lo_u32 v10, v9, v10
	v_add_co_u32_e32 v10, vcc, v11, v10
	v_addc_co_u32_e32 v11, vcc, 0, v12, vcc
	v_add_co_u32_e32 v8, vcc, v8, v10
	v_addc_co_u32_e32 v9, vcc, v9, v11, vcc
	v_mul_lo_u32 v10, s0, v9
	v_mul_hi_u32 v11, s0, v8
	v_add_u32_e32 v10, v11, v10
	v_mul_lo_u32 v11, s1, v8
	v_add_u32_e32 v10, v10, v11
	v_mul_lo_u32 v12, s0, v8
	v_mul_hi_u32 v13, v9, v12
	v_mul_lo_u32 v14, v9, v12
	v_mul_lo_u32 v16, v8, v10
	v_mul_hi_u32 v12, v8, v12
	v_mul_hi_u32 v15, v8, v10
	v_add_co_u32_e32 v12, vcc, v12, v16
	v_addc_co_u32_e32 v15, vcc, 0, v15, vcc
	v_add_co_u32_e32 v12, vcc, v12, v14
	v_mul_hi_u32 v11, v9, v10
	v_addc_co_u32_e32 v12, vcc, v15, v13, vcc
	v_addc_co_u32_e32 v11, vcc, 0, v11, vcc
	v_mul_lo_u32 v10, v9, v10
	v_add_co_u32_e32 v10, vcc, v12, v10
	v_addc_co_u32_e32 v11, vcc, 0, v11, vcc
	v_add_co_u32_e32 v10, vcc, v8, v10
	v_addc_co_u32_e32 v11, vcc, v9, v11, vcc
	v_ashrrev_i32_e32 v12, 31, v7
	v_add_co_u32_e32 v8, vcc, v5, v12
	v_addc_co_u32_e32 v9, vcc, v7, v12, vcc
	v_xor_b32_e32 v14, v8, v12
	v_xor_b32_e32 v13, v9, v12
	v_mad_u64_u32 v[8:9], s[0:1], v14, v11, 0
	v_mul_hi_u32 v15, v14, v10
	v_add_co_u32_e32 v15, vcc, v15, v8
	v_addc_co_u32_e32 v16, vcc, 0, v9, vcc
	v_mad_u64_u32 v[8:9], s[0:1], v13, v11, 0
	v_mad_u64_u32 v[10:11], s[0:1], v13, v10, 0
	v_add_co_u32_e32 v10, vcc, v15, v10
	v_addc_co_u32_e32 v10, vcc, v16, v11, vcc
	v_addc_co_u32_e32 v9, vcc, 0, v9, vcc
	v_add_co_u32_e32 v10, vcc, v10, v8
	v_addc_co_u32_e32 v11, vcc, 0, v9, vcc
	v_mul_lo_u32 v15, s11, v10
	v_mul_lo_u32 v16, s10, v11
	v_mad_u64_u32 v[8:9], s[0:1], s10, v10, 0
	v_add3_u32 v9, v9, v16, v15
	v_sub_u32_e32 v15, v13, v9
	v_mov_b32_e32 v16, s11
	v_sub_co_u32_e32 v8, vcc, v14, v8
	v_subb_co_u32_e64 v14, s[0:1], v15, v16, vcc
	v_subrev_co_u32_e64 v15, s[0:1], s10, v8
	v_subbrev_co_u32_e64 v14, s[0:1], 0, v14, s[0:1]
	v_cmp_le_u32_e64 s[0:1], s11, v14
	v_cndmask_b32_e64 v16, 0, -1, s[0:1]
	v_cmp_le_u32_e64 s[0:1], s10, v15
	v_cndmask_b32_e64 v15, 0, -1, s[0:1]
	v_cmp_eq_u32_e64 s[0:1], s11, v14
	v_cndmask_b32_e64 v14, v16, v15, s[0:1]
	v_add_co_u32_e64 v15, s[0:1], 2, v10
	v_subb_co_u32_e32 v9, vcc, v13, v9, vcc
	v_addc_co_u32_e64 v16, s[0:1], 0, v11, s[0:1]
	v_cmp_le_u32_e32 vcc, s11, v9
	v_add_co_u32_e64 v17, s[0:1], 1, v10
	v_cndmask_b32_e64 v13, 0, -1, vcc
	v_cmp_le_u32_e32 vcc, s10, v8
	v_addc_co_u32_e64 v18, s[0:1], 0, v11, s[0:1]
	v_cndmask_b32_e64 v8, 0, -1, vcc
	v_cmp_eq_u32_e32 vcc, s11, v9
	v_cmp_ne_u32_e64 s[0:1], 0, v14
	v_cndmask_b32_e32 v8, v13, v8, vcc
	v_cmp_ne_u32_e32 vcc, 0, v8
	v_cndmask_b32_e64 v9, v17, v15, s[0:1]
	v_cndmask_b32_e64 v14, v18, v16, s[0:1]
	v_cndmask_b32_e32 v9, v10, v9, vcc
	v_xor_b32_e32 v10, s8, v12
	v_cndmask_b32_e32 v8, v11, v14, vcc
	v_xor_b32_e32 v9, v9, v10
	v_xor_b32_e32 v8, v8, v10
	v_sub_co_u32_e32 v12, vcc, v9, v10
	v_subb_co_u32_e32 v13, vcc, v8, v10, vcc
.LBB31_8:
	s_or_saveexec_b64 s[0:1], s[6:7]
	s_load_dword s8, s[2:3], 0x0
	s_xor_b64 exec, exec, s[0:1]
	s_cbranch_execz .LBB31_10
; %bb.9:
	v_cvt_f32_u32_e32 v8, s14
	s_sub_i32 s2, 0, s14
	v_mov_b32_e32 v13, 0
	v_rcp_iflag_f32_e32 v8, v8
	v_mul_f32_e32 v8, 0x4f7ffffe, v8
	v_cvt_u32_f32_e32 v8, v8
	v_mul_lo_u32 v9, s2, v8
	v_mul_hi_u32 v9, v8, v9
	v_add_u32_e32 v8, v8, v9
	v_mul_hi_u32 v8, v5, v8
	v_mul_lo_u32 v9, v8, s14
	v_sub_u32_e32 v9, v5, v9
	v_add_u32_e32 v10, 1, v8
	v_subrev_u32_e32 v11, s14, v9
	v_cmp_le_u32_e32 vcc, s14, v9
	v_cndmask_b32_e32 v9, v9, v11, vcc
	v_cndmask_b32_e32 v8, v8, v10, vcc
	v_add_u32_e32 v10, 1, v8
	v_cmp_le_u32_e32 vcc, s14, v9
	v_cndmask_b32_e32 v12, v8, v10, vcc
.LBB31_10:
	s_or_b64 exec, exec, s[0:1]
	s_load_dwordx8 s[0:7], s[4:5], 0x0
	v_lshlrev_b64 v[2:3], 3, v[2:3]
	v_ashrrev_i32_e32 v18, 31, v4
	v_mul_lo_u32 v10, v4, s23
	v_mul_lo_u32 v11, v18, s22
	s_waitcnt lgkmcnt(0)
	v_mov_b32_e32 v8, s3
	v_add_co_u32_e32 v2, vcc, s2, v2
	v_addc_co_u32_e32 v3, vcc, v8, v3, vcc
	global_load_dwordx2 v[2:3], v[2:3], off
	v_mad_u64_u32 v[8:9], s[2:3], v4, s22, 0
	v_add3_u32 v9, v9, v10, v11
	v_lshlrev_b64 v[8:9], 3, v[8:9]
	v_mov_b32_e32 v10, s5
	v_add_co_u32_e32 v11, vcc, s4, v8
	v_addc_co_u32_e32 v10, vcc, v10, v9, vcc
	v_mul_lo_u32 v14, v13, s16
	v_mul_lo_u32 v15, v12, s17
	v_mad_u64_u32 v[8:9], s[2:3], v12, s16, 0
	v_add3_u32 v9, v9, v15, v14
	v_lshlrev_b64 v[8:9], 3, v[8:9]
	v_add_co_u32_e32 v14, vcc, v11, v8
	v_addc_co_u32_e32 v15, vcc, v10, v9, vcc
	s_lshl_b64 s[2:3], s[16:17], 3
	v_mov_b32_e32 v9, s3
	v_add_co_u32_e32 v8, vcc, s2, v14
	v_addc_co_u32_e32 v9, vcc, v15, v9, vcc
	v_lshlrev_b64 v[0:1], 3, v[0:1]
	v_add_co_u32_e32 v10, vcc, v14, v0
	v_mul_lo_u32 v17, s16, v6
	v_mov_b32_e32 v16, 0
	v_addc_co_u32_e32 v11, vcc, v15, v1, vcc
	v_ashrrev_i64 v[16:17], 29, v[16:17]
	v_mov_b32_e32 v6, s1
	v_add_co_u32_e32 v19, vcc, s0, v16
	v_addc_co_u32_e32 v20, vcc, v6, v17, vcc
	v_mul_lo_u32 v6, v13, s14
	v_mul_lo_u32 v21, v12, s15
	v_mad_u64_u32 v[16:17], s[0:1], v12, s14, 0
	v_add3_u32 v6, v17, v21, v6
	v_sub_co_u32_e32 v16, vcc, v5, v16
	v_subb_co_u32_e32 v17, vcc, v7, v6, vcc
	v_mul_lo_u32 v5, v16, s13
	v_mul_lo_u32 v21, v17, s12
	v_mad_u64_u32 v[6:7], s[0:1], v16, s12, v[12:13]
	v_add3_u32 v5, v21, v7, v5
	v_mul_lo_u32 v5, v5, s16
	v_mul_lo_u32 v12, v6, s17
	v_mad_u64_u32 v[6:7], s[0:1], v6, s16, 0
	v_add3_u32 v7, v7, v12, v5
	v_lshlrev_b64 v[6:7], 3, v[6:7]
	v_add_co_u32_e32 v5, vcc, v19, v6
	v_addc_co_u32_e32 v6, vcc, v20, v7, vcc
	v_mul_lo_u32 v7, v4, s25
	v_mul_lo_u32 v18, v18, s24
	v_mad_u64_u32 v[12:13], s[0:1], v4, s24, 0
	v_add3_u32 v13, v13, v7, v18
	v_lshlrev_b64 v[12:13], 3, v[12:13]
	v_mov_b32_e32 v4, s7
	v_add_co_u32_e32 v7, vcc, s6, v12
	v_addc_co_u32_e32 v18, vcc, v4, v13, vcc
	v_mul_lo_u32 v4, v17, s16
	v_mul_lo_u32 v17, v16, s17
	v_mad_u64_u32 v[12:13], s[0:1], v16, s16, 0
	v_add3_u32 v13, v13, v17, v4
	v_lshlrev_b64 v[12:13], 3, v[12:13]
	s_mul_i32 s0, s8, s18
	v_add_co_u32_e32 v4, vcc, v7, v12
	s_ashr_i32 s1, s0, 31
	v_addc_co_u32_e32 v7, vcc, v18, v13, vcc
	s_lshl_b64 s[2:3], s[0:1], 3
	s_mov_b64 s[4:5], 0
.LBB31_11:                              ; =>This Inner Loop Header: Depth=1
	v_add_co_u32_e32 v12, vcc, v4, v0
	v_addc_co_u32_e32 v13, vcc, v7, v1, vcc
	v_add_co_u32_e32 v16, vcc, v14, v0
	v_addc_co_u32_e32 v17, vcc, v15, v1, vcc
	global_load_dwordx2 v[18:19], v[16:17], off
	global_load_dwordx2 v[20:21], v[12:13], off
	v_add_co_u32_e32 v12, vcc, v5, v0
	v_addc_co_u32_e32 v13, vcc, v6, v1, vcc
	v_mov_b32_e32 v16, s3
	v_add_co_u32_e32 v0, vcc, s2, v0
	v_add_co_u32_e64 v10, s[0:1], s2, v10
	v_addc_co_u32_e64 v11, s[0:1], v11, v16, s[0:1]
	v_addc_co_u32_e32 v1, vcc, v1, v16, vcc
	v_cmp_ge_u64_e32 vcc, v[10:11], v[8:9]
	s_or_b64 s[4:5], vcc, s[4:5]
	s_waitcnt vmcnt(0)
	v_add_f64 v[16:17], v[18:19], -v[20:21]
	v_cmp_lt_f64_e32 vcc, 0, v[16:17]
	v_cndmask_b32_e64 v18, 0, 1, vcc
	v_cmp_gt_f64_e32 vcc, 0, v[16:17]
	v_subbrev_co_u32_e32 v16, vcc, 0, v18, vcc
	v_cvt_f64_i32_e32 v[16:17], v16
	v_mul_f64 v[16:17], v[2:3], v[16:17]
	global_store_dwordx2 v[12:13], v[16:17], off
	s_andn2_b64 exec, exec, s[4:5]
	s_cbranch_execnz .LBB31_11
.LBB31_12:
	s_endpgm
	.section	.rodata,"a",@progbits
	.p2align	6, 0x0
	.amdhsa_kernel _ZN2at6native12_GLOBAL__N_131cdist_backward_kernel_cuda_implIdNS1_5distsIdE3oneEEEvPT_PKS6_S9_S9_S9_S6_lllllll
		.amdhsa_group_segment_fixed_size 0
		.amdhsa_private_segment_fixed_size 0
		.amdhsa_kernarg_size 360
		.amdhsa_user_sgpr_count 6
		.amdhsa_user_sgpr_private_segment_buffer 1
		.amdhsa_user_sgpr_dispatch_ptr 0
		.amdhsa_user_sgpr_queue_ptr 0
		.amdhsa_user_sgpr_kernarg_segment_ptr 1
		.amdhsa_user_sgpr_dispatch_id 0
		.amdhsa_user_sgpr_flat_scratch_init 0
		.amdhsa_user_sgpr_kernarg_preload_length 0
		.amdhsa_user_sgpr_kernarg_preload_offset 0
		.amdhsa_user_sgpr_private_segment_size 0
		.amdhsa_uses_dynamic_stack 0
		.amdhsa_system_sgpr_private_segment_wavefront_offset 0
		.amdhsa_system_sgpr_workgroup_id_x 1
		.amdhsa_system_sgpr_workgroup_id_y 1
		.amdhsa_system_sgpr_workgroup_id_z 1
		.amdhsa_system_sgpr_workgroup_info 0
		.amdhsa_system_vgpr_workitem_id 1
		.amdhsa_next_free_vgpr 22
		.amdhsa_next_free_sgpr 28
		.amdhsa_accum_offset 24
		.amdhsa_reserve_vcc 1
		.amdhsa_reserve_flat_scratch 0
		.amdhsa_float_round_mode_32 0
		.amdhsa_float_round_mode_16_64 0
		.amdhsa_float_denorm_mode_32 3
		.amdhsa_float_denorm_mode_16_64 3
		.amdhsa_dx10_clamp 1
		.amdhsa_ieee_mode 1
		.amdhsa_fp16_overflow 0
		.amdhsa_tg_split 0
		.amdhsa_exception_fp_ieee_invalid_op 0
		.amdhsa_exception_fp_denorm_src 0
		.amdhsa_exception_fp_ieee_div_zero 0
		.amdhsa_exception_fp_ieee_overflow 0
		.amdhsa_exception_fp_ieee_underflow 0
		.amdhsa_exception_fp_ieee_inexact 0
		.amdhsa_exception_int_div_zero 0
	.end_amdhsa_kernel
	.section	.text._ZN2at6native12_GLOBAL__N_131cdist_backward_kernel_cuda_implIdNS1_5distsIdE3oneEEEvPT_PKS6_S9_S9_S9_S6_lllllll,"axG",@progbits,_ZN2at6native12_GLOBAL__N_131cdist_backward_kernel_cuda_implIdNS1_5distsIdE3oneEEEvPT_PKS6_S9_S9_S9_S6_lllllll,comdat
.Lfunc_end31:
	.size	_ZN2at6native12_GLOBAL__N_131cdist_backward_kernel_cuda_implIdNS1_5distsIdE3oneEEEvPT_PKS6_S9_S9_S9_S6_lllllll, .Lfunc_end31-_ZN2at6native12_GLOBAL__N_131cdist_backward_kernel_cuda_implIdNS1_5distsIdE3oneEEEvPT_PKS6_S9_S9_S9_S6_lllllll
                                        ; -- End function
	.section	.AMDGPU.csdata,"",@progbits
; Kernel info:
; codeLenInByte = 2388
; NumSgprs: 32
; NumVgprs: 22
; NumAgprs: 0
; TotalNumVgprs: 22
; ScratchSize: 0
; MemoryBound: 0
; FloatMode: 240
; IeeeMode: 1
; LDSByteSize: 0 bytes/workgroup (compile time only)
; SGPRBlocks: 3
; VGPRBlocks: 2
; NumSGPRsForWavesPerEU: 32
; NumVGPRsForWavesPerEU: 22
; AccumOffset: 24
; Occupancy: 8
; WaveLimiterHint : 0
; COMPUTE_PGM_RSRC2:SCRATCH_EN: 0
; COMPUTE_PGM_RSRC2:USER_SGPR: 6
; COMPUTE_PGM_RSRC2:TRAP_HANDLER: 0
; COMPUTE_PGM_RSRC2:TGID_X_EN: 1
; COMPUTE_PGM_RSRC2:TGID_Y_EN: 1
; COMPUTE_PGM_RSRC2:TGID_Z_EN: 1
; COMPUTE_PGM_RSRC2:TIDIG_COMP_CNT: 1
; COMPUTE_PGM_RSRC3_GFX90A:ACCUM_OFFSET: 5
; COMPUTE_PGM_RSRC3_GFX90A:TG_SPLIT: 0
	.section	.text._ZN2at6native12_GLOBAL__N_131cdist_backward_kernel_cuda_implIdNS1_5distsIdE6lt_twoEEEvPT_PKS6_S9_S9_S9_S6_lllllll,"axG",@progbits,_ZN2at6native12_GLOBAL__N_131cdist_backward_kernel_cuda_implIdNS1_5distsIdE6lt_twoEEEvPT_PKS6_S9_S9_S9_S6_lllllll,comdat
	.globl	_ZN2at6native12_GLOBAL__N_131cdist_backward_kernel_cuda_implIdNS1_5distsIdE6lt_twoEEEvPT_PKS6_S9_S9_S9_S6_lllllll ; -- Begin function _ZN2at6native12_GLOBAL__N_131cdist_backward_kernel_cuda_implIdNS1_5distsIdE6lt_twoEEEvPT_PKS6_S9_S9_S9_S6_lllllll
	.p2align	8
	.type	_ZN2at6native12_GLOBAL__N_131cdist_backward_kernel_cuda_implIdNS1_5distsIdE6lt_twoEEEvPT_PKS6_S9_S9_S9_S6_lllllll,@function
_ZN2at6native12_GLOBAL__N_131cdist_backward_kernel_cuda_implIdNS1_5distsIdE6lt_twoEEEvPT_PKS6_S9_S9_S9_S6_lllllll: ; @_ZN2at6native12_GLOBAL__N_131cdist_backward_kernel_cuda_implIdNS1_5distsIdE6lt_twoEEEvPT_PKS6_S9_S9_S9_S6_lllllll
; %bb.0:
	s_load_dwordx2 s[0:1], s[4:5], 0x70
	s_load_dwordx8 s[36:43], s[4:5], 0x40
	s_add_u32 s2, s4, 0x68
	s_addc_u32 s3, s5, 0
	v_bfe_u32 v1, v0, 10, 10
	s_waitcnt lgkmcnt(0)
	s_mul_i32 s0, s0, s7
	s_add_i32 s0, s0, s8
	s_lshr_b32 s7, s1, 16
	s_mul_i32 s0, s0, s7
	v_add_u32_e32 v2, s0, v1
	v_ashrrev_i32_e32 v3, 31, v2
	v_cmp_gt_i64_e32 vcc, s[38:39], v[2:3]
	s_and_saveexec_b64 s[8:9], vcc
	s_cbranch_execz .LBB32_14
; %bb.1:
	s_load_dwordx2 s[10:11], s[4:5], 0x60
	s_and_b32 s33, s1, 0xffff
	s_mul_i32 s6, s6, s33
	v_and_b32_e32 v0, 0x3ff, v0
	v_add_u32_e32 v0, s6, v0
	v_ashrrev_i32_e32 v1, 31, v0
	v_cmp_gt_i64_e32 vcc, s[36:37], v[0:1]
	s_and_b64 exec, exec, vcc
	s_cbranch_execz .LBB32_14
; %bb.2:
	v_or_b32_e32 v5, s41, v3
	v_mov_b32_e32 v4, 0
	v_cmp_ne_u64_e32 vcc, 0, v[4:5]
                                        ; implicit-def: $vgpr8_vgpr9
	s_and_saveexec_b64 s[0:1], vcc
	s_xor_b64 s[6:7], exec, s[0:1]
	s_cbranch_execz .LBB32_4
; %bb.3:
	s_ashr_i32 s8, s41, 31
	s_add_u32 s0, s40, s8
	s_mov_b32 s9, s8
	s_addc_u32 s1, s41, s8
	s_xor_b64 s[12:13], s[0:1], s[8:9]
	v_cvt_f32_u32_e32 v4, s12
	v_cvt_f32_u32_e32 v5, s13
	s_sub_u32 s0, 0, s12
	s_subb_u32 s1, 0, s13
	v_madmk_f32 v4, v5, 0x4f800000, v4
	v_rcp_f32_e32 v4, v4
	v_mul_f32_e32 v4, 0x5f7ffffc, v4
	v_mul_f32_e32 v5, 0x2f800000, v4
	v_trunc_f32_e32 v5, v5
	v_madmk_f32 v4, v5, 0xcf800000, v4
	v_cvt_u32_f32_e32 v5, v5
	v_cvt_u32_f32_e32 v4, v4
	v_mul_lo_u32 v6, s0, v5
	v_mul_hi_u32 v8, s0, v4
	v_mul_lo_u32 v7, s1, v4
	v_add_u32_e32 v6, v8, v6
	v_mul_lo_u32 v9, s0, v4
	v_add_u32_e32 v6, v6, v7
	v_mul_lo_u32 v8, v4, v6
	v_mul_hi_u32 v10, v4, v9
	v_mul_hi_u32 v7, v4, v6
	v_add_co_u32_e32 v8, vcc, v10, v8
	v_addc_co_u32_e32 v7, vcc, 0, v7, vcc
	v_mul_hi_u32 v11, v5, v9
	v_mul_lo_u32 v9, v5, v9
	v_add_co_u32_e32 v8, vcc, v8, v9
	v_mul_hi_u32 v10, v5, v6
	v_addc_co_u32_e32 v7, vcc, v7, v11, vcc
	v_addc_co_u32_e32 v8, vcc, 0, v10, vcc
	v_mul_lo_u32 v6, v5, v6
	v_add_co_u32_e32 v6, vcc, v7, v6
	v_addc_co_u32_e32 v7, vcc, 0, v8, vcc
	v_add_co_u32_e32 v4, vcc, v4, v6
	v_addc_co_u32_e32 v5, vcc, v5, v7, vcc
	v_mul_lo_u32 v6, s0, v5
	v_mul_hi_u32 v7, s0, v4
	v_add_u32_e32 v6, v7, v6
	v_mul_lo_u32 v7, s1, v4
	v_add_u32_e32 v6, v6, v7
	v_mul_lo_u32 v8, s0, v4
	v_mul_hi_u32 v9, v5, v8
	v_mul_lo_u32 v10, v5, v8
	v_mul_lo_u32 v12, v4, v6
	v_mul_hi_u32 v8, v4, v8
	v_mul_hi_u32 v11, v4, v6
	v_add_co_u32_e32 v8, vcc, v8, v12
	v_addc_co_u32_e32 v11, vcc, 0, v11, vcc
	v_add_co_u32_e32 v8, vcc, v8, v10
	v_mul_hi_u32 v7, v5, v6
	v_addc_co_u32_e32 v8, vcc, v11, v9, vcc
	v_addc_co_u32_e32 v7, vcc, 0, v7, vcc
	v_mul_lo_u32 v6, v5, v6
	v_add_co_u32_e32 v6, vcc, v8, v6
	v_addc_co_u32_e32 v7, vcc, 0, v7, vcc
	v_add_co_u32_e32 v6, vcc, v4, v6
	v_addc_co_u32_e32 v7, vcc, v5, v7, vcc
	v_ashrrev_i32_e32 v8, 31, v3
	v_add_co_u32_e32 v4, vcc, v2, v8
	v_addc_co_u32_e32 v5, vcc, v3, v8, vcc
	v_xor_b32_e32 v10, v4, v8
	v_xor_b32_e32 v9, v5, v8
	v_mad_u64_u32 v[4:5], s[0:1], v10, v7, 0
	v_mul_hi_u32 v11, v10, v6
	v_add_co_u32_e32 v11, vcc, v11, v4
	v_addc_co_u32_e32 v12, vcc, 0, v5, vcc
	v_mad_u64_u32 v[4:5], s[0:1], v9, v7, 0
	v_mad_u64_u32 v[6:7], s[0:1], v9, v6, 0
	v_add_co_u32_e32 v6, vcc, v11, v6
	v_addc_co_u32_e32 v6, vcc, v12, v7, vcc
	v_addc_co_u32_e32 v5, vcc, 0, v5, vcc
	v_add_co_u32_e32 v6, vcc, v6, v4
	v_addc_co_u32_e32 v7, vcc, 0, v5, vcc
	v_mul_lo_u32 v11, s13, v6
	v_mul_lo_u32 v12, s12, v7
	v_mad_u64_u32 v[4:5], s[0:1], s12, v6, 0
	v_add3_u32 v5, v5, v12, v11
	v_sub_u32_e32 v11, v9, v5
	v_mov_b32_e32 v12, s13
	v_sub_co_u32_e32 v4, vcc, v10, v4
	v_subb_co_u32_e64 v10, s[0:1], v11, v12, vcc
	v_subrev_co_u32_e64 v11, s[0:1], s12, v4
	v_subbrev_co_u32_e64 v10, s[0:1], 0, v10, s[0:1]
	v_cmp_le_u32_e64 s[0:1], s13, v10
	v_cndmask_b32_e64 v12, 0, -1, s[0:1]
	v_cmp_le_u32_e64 s[0:1], s12, v11
	v_cndmask_b32_e64 v11, 0, -1, s[0:1]
	v_cmp_eq_u32_e64 s[0:1], s13, v10
	v_cndmask_b32_e64 v10, v12, v11, s[0:1]
	v_add_co_u32_e64 v11, s[0:1], 2, v6
	v_subb_co_u32_e32 v5, vcc, v9, v5, vcc
	v_addc_co_u32_e64 v12, s[0:1], 0, v7, s[0:1]
	v_cmp_le_u32_e32 vcc, s13, v5
	v_add_co_u32_e64 v13, s[0:1], 1, v6
	v_cndmask_b32_e64 v9, 0, -1, vcc
	v_cmp_le_u32_e32 vcc, s12, v4
	v_addc_co_u32_e64 v14, s[0:1], 0, v7, s[0:1]
	v_cndmask_b32_e64 v4, 0, -1, vcc
	v_cmp_eq_u32_e32 vcc, s13, v5
	v_cmp_ne_u32_e64 s[0:1], 0, v10
	v_cndmask_b32_e32 v4, v9, v4, vcc
	v_cmp_ne_u32_e32 vcc, 0, v4
	v_cndmask_b32_e64 v5, v13, v11, s[0:1]
	v_cndmask_b32_e64 v10, v14, v12, s[0:1]
	v_cndmask_b32_e32 v5, v6, v5, vcc
	v_xor_b32_e32 v6, s8, v8
	v_cndmask_b32_e32 v4, v7, v10, vcc
	v_xor_b32_e32 v5, v5, v6
	v_xor_b32_e32 v4, v4, v6
	v_sub_co_u32_e32 v8, vcc, v5, v6
	v_subb_co_u32_e32 v9, vcc, v4, v6, vcc
.LBB32_4:
	s_andn2_saveexec_b64 s[0:1], s[6:7]
	s_cbranch_execz .LBB32_6
; %bb.5:
	v_cvt_f32_u32_e32 v4, s40
	s_sub_i32 s6, 0, s40
	v_mov_b32_e32 v9, 0
	v_rcp_iflag_f32_e32 v4, v4
	v_mul_f32_e32 v4, 0x4f7ffffe, v4
	v_cvt_u32_f32_e32 v4, v4
	v_mul_lo_u32 v5, s6, v4
	v_mul_hi_u32 v5, v4, v5
	v_add_u32_e32 v4, v4, v5
	v_mul_hi_u32 v4, v2, v4
	v_mul_lo_u32 v5, v4, s40
	v_sub_u32_e32 v5, v2, v5
	v_add_u32_e32 v6, 1, v4
	v_subrev_u32_e32 v7, s40, v5
	v_cmp_le_u32_e32 vcc, s40, v5
	v_cndmask_b32_e32 v5, v5, v7, vcc
	v_cndmask_b32_e32 v4, v4, v6, vcc
	v_add_u32_e32 v6, 1, v4
	v_cmp_le_u32_e32 vcc, s40, v5
	v_cndmask_b32_e32 v8, v4, v6, vcc
.LBB32_6:
	s_or_b64 exec, exec, s[0:1]
	s_load_dwordx16 s[12:27], s[4:5], 0x0
	v_mul_lo_u32 v6, v9, s40
	v_mul_lo_u32 v7, v8, s41
	v_mad_u64_u32 v[4:5], s[0:1], v8, s40, 0
	v_add3_u32 v5, v5, v7, v6
	v_sub_co_u32_e32 v9, vcc, v2, v4
	v_subb_co_u32_e32 v63, vcc, v3, v5, vcc
	s_waitcnt lgkmcnt(0)
	v_or_b32_e32 v7, s27, v63
	v_mov_b32_e32 v6, 0
	v_cmp_ne_u64_e32 vcc, 0, v[6:7]
                                        ; implicit-def: $vgpr24_vgpr25
	s_and_saveexec_b64 s[0:1], vcc
	s_xor_b64 s[4:5], exec, s[0:1]
	s_cbranch_execz .LBB32_8
; %bb.7:
	s_ashr_i32 s6, s27, 31
	s_add_u32 s0, s26, s6
	s_mov_b32 s7, s6
	s_addc_u32 s1, s27, s6
	s_xor_b64 s[8:9], s[0:1], s[6:7]
	v_cvt_f32_u32_e32 v5, s8
	v_cvt_f32_u32_e32 v6, s9
	s_sub_u32 s0, 0, s8
	s_subb_u32 s1, 0, s9
	v_madmk_f32 v5, v6, 0x4f800000, v5
	v_rcp_f32_e32 v5, v5
	v_mul_f32_e32 v5, 0x5f7ffffc, v5
	v_mul_f32_e32 v6, 0x2f800000, v5
	v_trunc_f32_e32 v6, v6
	v_madmk_f32 v5, v6, 0xcf800000, v5
	v_cvt_u32_f32_e32 v6, v6
	v_cvt_u32_f32_e32 v5, v5
	v_mul_lo_u32 v7, s0, v6
	v_mul_hi_u32 v11, s0, v5
	v_mul_lo_u32 v10, s1, v5
	v_add_u32_e32 v7, v11, v7
	v_mul_lo_u32 v12, s0, v5
	v_add_u32_e32 v7, v7, v10
	v_mul_lo_u32 v11, v5, v7
	v_mul_hi_u32 v13, v5, v12
	v_mul_hi_u32 v10, v5, v7
	v_add_co_u32_e32 v11, vcc, v13, v11
	v_addc_co_u32_e32 v10, vcc, 0, v10, vcc
	v_mul_hi_u32 v14, v6, v12
	v_mul_lo_u32 v12, v6, v12
	v_add_co_u32_e32 v11, vcc, v11, v12
	v_mul_hi_u32 v13, v6, v7
	v_addc_co_u32_e32 v10, vcc, v10, v14, vcc
	v_addc_co_u32_e32 v11, vcc, 0, v13, vcc
	v_mul_lo_u32 v7, v6, v7
	v_add_co_u32_e32 v7, vcc, v10, v7
	v_addc_co_u32_e32 v10, vcc, 0, v11, vcc
	v_add_co_u32_e32 v5, vcc, v5, v7
	v_addc_co_u32_e32 v6, vcc, v6, v10, vcc
	v_mul_lo_u32 v7, s0, v6
	v_mul_hi_u32 v10, s0, v5
	v_add_u32_e32 v7, v10, v7
	v_mul_lo_u32 v10, s1, v5
	v_add_u32_e32 v7, v7, v10
	v_mul_lo_u32 v11, s0, v5
	v_mul_hi_u32 v12, v6, v11
	v_mul_lo_u32 v13, v6, v11
	v_mul_lo_u32 v15, v5, v7
	v_mul_hi_u32 v11, v5, v11
	v_mul_hi_u32 v14, v5, v7
	v_add_co_u32_e32 v11, vcc, v11, v15
	v_addc_co_u32_e32 v14, vcc, 0, v14, vcc
	v_add_co_u32_e32 v11, vcc, v11, v13
	v_mul_hi_u32 v10, v6, v7
	v_addc_co_u32_e32 v11, vcc, v14, v12, vcc
	v_addc_co_u32_e32 v10, vcc, 0, v10, vcc
	v_mul_lo_u32 v7, v6, v7
	v_add_co_u32_e32 v7, vcc, v11, v7
	v_addc_co_u32_e32 v10, vcc, 0, v10, vcc
	v_add_co_u32_e32 v5, vcc, v5, v7
	v_addc_co_u32_e32 v10, vcc, v6, v10, vcc
	v_ashrrev_i32_e32 v12, 31, v63
	v_add_co_u32_e32 v6, vcc, v9, v12
	v_addc_co_u32_e32 v7, vcc, v63, v12, vcc
	v_xor_b32_e32 v14, v6, v12
	v_xor_b32_e32 v13, v7, v12
	v_mad_u64_u32 v[6:7], s[0:1], v14, v10, 0
	v_mul_hi_u32 v11, v14, v5
	v_add_co_u32_e32 v15, vcc, v11, v6
	v_addc_co_u32_e32 v16, vcc, 0, v7, vcc
	v_mad_u64_u32 v[6:7], s[0:1], v13, v10, 0
	v_mad_u64_u32 v[10:11], s[0:1], v13, v5, 0
	v_add_co_u32_e32 v5, vcc, v15, v10
	v_addc_co_u32_e32 v5, vcc, v16, v11, vcc
	v_addc_co_u32_e32 v7, vcc, 0, v7, vcc
	v_add_co_u32_e32 v5, vcc, v5, v6
	v_addc_co_u32_e32 v10, vcc, 0, v7, vcc
	v_mul_lo_u32 v11, s9, v5
	v_mul_lo_u32 v15, s8, v10
	v_mad_u64_u32 v[6:7], s[0:1], s8, v5, 0
	v_add3_u32 v7, v7, v15, v11
	v_sub_u32_e32 v11, v13, v7
	v_mov_b32_e32 v15, s9
	v_sub_co_u32_e32 v6, vcc, v14, v6
	v_subb_co_u32_e64 v11, s[0:1], v11, v15, vcc
	v_subrev_co_u32_e64 v14, s[0:1], s8, v6
	v_subbrev_co_u32_e64 v11, s[0:1], 0, v11, s[0:1]
	v_cmp_le_u32_e64 s[0:1], s9, v11
	v_cndmask_b32_e64 v15, 0, -1, s[0:1]
	v_cmp_le_u32_e64 s[0:1], s8, v14
	v_cndmask_b32_e64 v14, 0, -1, s[0:1]
	v_cmp_eq_u32_e64 s[0:1], s9, v11
	v_cndmask_b32_e64 v11, v15, v14, s[0:1]
	v_add_co_u32_e64 v14, s[0:1], 2, v5
	v_subb_co_u32_e32 v7, vcc, v13, v7, vcc
	v_addc_co_u32_e64 v15, s[0:1], 0, v10, s[0:1]
	v_cmp_le_u32_e32 vcc, s9, v7
	v_add_co_u32_e64 v16, s[0:1], 1, v5
	v_cndmask_b32_e64 v13, 0, -1, vcc
	v_cmp_le_u32_e32 vcc, s8, v6
	v_addc_co_u32_e64 v17, s[0:1], 0, v10, s[0:1]
	v_cndmask_b32_e64 v6, 0, -1, vcc
	v_cmp_eq_u32_e32 vcc, s9, v7
	v_cmp_ne_u32_e64 s[0:1], 0, v11
	v_cndmask_b32_e32 v6, v13, v6, vcc
	v_cmp_ne_u32_e32 vcc, 0, v6
	v_cndmask_b32_e64 v7, v16, v14, s[0:1]
	v_cndmask_b32_e64 v11, v17, v15, s[0:1]
	v_cndmask_b32_e32 v5, v5, v7, vcc
	v_xor_b32_e32 v7, s6, v12
	v_cndmask_b32_e32 v6, v10, v11, vcc
	v_xor_b32_e32 v5, v5, v7
	v_xor_b32_e32 v6, v6, v7
	v_sub_co_u32_e32 v24, vcc, v5, v7
	v_subb_co_u32_e32 v25, vcc, v6, v7, vcc
.LBB32_8:
	s_or_saveexec_b64 s[0:1], s[4:5]
	s_load_dword s58, s[2:3], 0x0
	s_xor_b64 exec, exec, s[0:1]
	s_cbranch_execz .LBB32_10
; %bb.9:
	v_cvt_f32_u32_e32 v5, s26
	s_sub_i32 s2, 0, s26
	v_mov_b32_e32 v25, 0
	v_rcp_iflag_f32_e32 v5, v5
	v_mul_f32_e32 v5, 0x4f7ffffe, v5
	v_cvt_u32_f32_e32 v5, v5
	v_mul_lo_u32 v6, s2, v5
	v_mul_hi_u32 v6, v5, v6
	v_add_u32_e32 v5, v5, v6
	v_mul_hi_u32 v5, v9, v5
	v_mul_lo_u32 v6, v5, s26
	v_sub_u32_e32 v6, v9, v6
	v_add_u32_e32 v7, 1, v5
	v_subrev_u32_e32 v10, s26, v6
	v_cmp_le_u32_e32 vcc, s26, v6
	v_cndmask_b32_e32 v6, v6, v10, vcc
	v_cndmask_b32_e32 v5, v5, v7, vcc
	v_add_u32_e32 v7, 1, v5
	v_cmp_le_u32_e32 vcc, s26, v6
	v_cndmask_b32_e32 v24, v5, v7, vcc
.LBB32_10:
	s_or_b64 exec, exec, s[0:1]
	v_lshlrev_b64 v[28:29], 3, v[2:3]
	v_mov_b32_e32 v3, s21
	v_add_co_u32_e32 v2, vcc, s20, v28
	v_addc_co_u32_e32 v3, vcc, v3, v29, vcc
	global_load_dwordx2 v[26:27], v[2:3], off
	v_mul_lo_u32 v3, s36, v4
	v_add_f64 v[4:5], s[22:23], -1.0
	v_mov_b32_e32 v62, 0x3ff00000
	v_mov_b32_e32 v2, 0
	v_ashrrev_i64 v[52:53], 29, v[2:3]
	s_mov_b32 s20, 0x55555555
	s_mov_b32 s21, 0x3fe55555
	;; [unrolled: 1-line block ×6, first 2 shown]
	v_mov_b32_e32 v6, 0x968915a9
	v_mov_b32_e32 v7, 0x3fba6564
	s_mov_b32 s28, 0x4222de17
	s_mov_b32 s29, 0x3fbdee67
	v_mov_b32_e32 v10, 0x3abe935a
	v_mov_b32_e32 v11, 0x3fbe25e4
	v_pk_mov_b32 v[30:31], v[6:7], v[6:7] op_sel:[0,1]
	v_mov_b32_e32 v12, 0x47e6c9c2
	v_mov_b32_e32 v13, 0x3fc110ef
	v_pk_mov_b32 v[32:33], v[10:11], v[10:11] op_sel:[0,1]
	;; [unrolled: 3-line block ×7, first 2 shown]
	v_pk_mov_b32 v[44:45], v[22:23], v[22:23] op_sel:[0,1]
	s_mov_b32 s39, 0xbfe55555
	s_mov_b32 s40, 0xd5df274d
	;; [unrolled: 1-line block ×4, first 2 shown]
	s_movk_i32 s59, 0x204
	s_mov_b32 s46, 0x652b82fe
	s_mov_b32 s47, 0x3ff71547
	;; [unrolled: 1-line block ×14, first 2 shown]
	v_lshlrev_b64 v[0:1], 3, v[0:1]
	s_waitcnt vmcnt(0)
	v_cmp_eq_f64_e32 vcc, 1.0, v[26:27]
	v_cndmask_b32_e32 v49, v5, v62, vcc
	v_cndmask_b32_e64 v48, v4, 0, vcc
	v_and_b32_e32 v3, 0x7fffffff, v27
	v_cmp_eq_f64_e64 s[0:1], 0, v[48:49]
	v_cndmask_b32_e64 v55, v3, v62, s[0:1]
	v_cndmask_b32_e64 v54, v26, 0, s[0:1]
	v_frexp_mant_f64_e32 v[46:47], v[54:55]
	v_cmp_gt_f64_e64 s[2:3], s[20:21], v[46:47]
	v_cndmask_b32_e64 v3, v62, 2.0, s[2:3]
	v_frexp_exp_i32_f64_e32 v50, v[54:55]
	v_mul_f64 v[46:47], v[46:47], v[2:3]
	v_subbrev_co_u32_e64 v3, s[2:3], 0, v50, s[2:3]
	v_add_f64 v[58:59], v[46:47], 1.0
	v_cvt_f64_i32_e32 v[60:61], v3
	v_rcp_f64_e32 v[66:67], v[58:59]
	v_add_f64 v[64:65], v[58:59], -1.0
	v_mul_f64 v[68:69], v[60:61], s[30:31]
	v_add_f64 v[56:57], v[46:47], -1.0
	v_add_f64 v[46:47], v[46:47], -v[64:65]
	v_fma_f64 v[64:65], v[60:61], s[30:31], -v[68:69]
	v_fmac_f64_e32 v[64:65], s[34:35], v[60:61]
	v_add_f64 v[60:61], v[68:69], v[64:65]
	v_fma_f64 v[70:71], -v[58:59], v[66:67], 1.0
	v_add_f64 v[68:69], v[60:61], -v[68:69]
	v_fmac_f64_e32 v[66:67], v[70:71], v[66:67]
	v_add_f64 v[64:65], v[64:65], -v[68:69]
	v_fma_f64 v[68:69], -v[58:59], v[66:67], 1.0
	v_fmac_f64_e32 v[66:67], v[68:69], v[66:67]
	v_mul_f64 v[68:69], v[56:57], v[66:67]
	v_mul_f64 v[70:71], v[58:59], v[68:69]
	v_fma_f64 v[58:59], v[68:69], v[58:59], -v[70:71]
	v_fmac_f64_e32 v[58:59], v[68:69], v[46:47]
	v_add_f64 v[46:47], v[70:71], v[58:59]
	v_add_f64 v[72:73], v[56:57], -v[46:47]
	v_add_f64 v[70:71], v[46:47], -v[70:71]
	;; [unrolled: 1-line block ×5, first 2 shown]
	v_add_f64 v[46:47], v[58:59], v[46:47]
	v_add_f64 v[46:47], v[72:73], v[46:47]
	v_mul_f64 v[46:47], v[66:67], v[46:47]
	v_add_f64 v[56:57], v[68:69], v[46:47]
	v_add_f64 v[58:59], v[56:57], -v[68:69]
	v_mul_f64 v[66:67], v[56:57], v[56:57]
	v_add_f64 v[46:47], v[46:47], -v[58:59]
	v_fma_f64 v[58:59], v[56:57], v[56:57], -v[66:67]
	v_add_f64 v[70:71], v[46:47], v[46:47]
	v_fmac_f64_e32 v[58:59], v[56:57], v[70:71]
	v_add_f64 v[70:71], v[66:67], v[58:59]
	v_fmac_f64_e32 v[30:31], s[28:29], v[70:71]
	v_fmac_f64_e32 v[32:33], v[70:71], v[30:31]
	;; [unrolled: 1-line block ×8, first 2 shown]
	v_add_f64 v[66:67], v[70:71], -v[66:67]
	v_mul_f64 v[36:37], v[70:71], v[44:45]
	v_add_f64 v[58:59], v[58:59], -v[66:67]
	v_fma_f64 v[38:39], v[70:71], v[44:45], -v[36:37]
	v_fmac_f64_e32 v[38:39], v[58:59], v[44:45]
	v_add_f64 v[40:41], v[36:37], v[38:39]
	v_mul_f64 v[74:75], v[56:57], v[70:71]
	v_add_f64 v[36:37], v[40:41], -v[36:37]
	v_add_f64 v[42:43], v[40:41], s[20:21]
	v_fma_f64 v[30:31], v[70:71], v[56:57], -v[74:75]
	v_add_f64 v[36:37], v[38:39], -v[36:37]
	v_add_f64 v[38:39], v[42:43], s[38:39]
	v_fmac_f64_e32 v[30:31], v[70:71], v[46:47]
	v_add_f64 v[38:39], v[40:41], -v[38:39]
	v_add_f64 v[36:37], v[36:37], s[40:41]
	v_fmac_f64_e32 v[30:31], v[58:59], v[56:57]
	v_add_f64 v[36:37], v[36:37], v[38:39]
	v_add_f64 v[32:33], v[74:75], v[30:31]
	;; [unrolled: 1-line block ×3, first 2 shown]
	v_add_f64 v[40:41], v[42:43], -v[38:39]
	v_mul_f64 v[42:43], v[32:33], v[38:39]
	v_add_f64 v[34:35], v[32:33], -v[74:75]
	v_add_f64 v[36:37], v[36:37], v[40:41]
	v_fma_f64 v[40:41], v[32:33], v[38:39], -v[42:43]
	v_fmac_f64_e32 v[40:41], v[32:33], v[36:37]
	v_add_f64 v[30:31], v[30:31], -v[34:35]
	v_fmac_f64_e32 v[40:41], v[30:31], v[38:39]
	v_ldexp_f64 v[68:69], v[56:57], 1
	v_add_f64 v[30:31], v[42:43], v[40:41]
	v_add_f64 v[32:33], v[30:31], -v[42:43]
	v_add_f64 v[34:35], v[68:69], v[30:31]
	v_ldexp_f64 v[72:73], v[46:47], 1
	v_add_f64 v[32:33], v[40:41], -v[32:33]
	v_add_f64 v[36:37], v[34:35], -v[68:69]
	v_add_f64 v[30:31], v[30:31], -v[36:37]
	v_add_f64 v[32:33], v[72:73], v[32:33]
	v_add_f64 v[30:31], v[32:33], v[30:31]
	v_add_f64 v[32:33], v[34:35], v[30:31]
	v_add_f64 v[34:35], v[32:33], -v[34:35]
	v_add_f64 v[30:31], v[30:31], -v[34:35]
	v_add_f64 v[34:35], v[60:61], v[32:33]
	v_add_f64 v[36:37], v[34:35], -v[60:61]
	v_add_f64 v[38:39], v[34:35], -v[36:37]
	;; [unrolled: 1-line block ×4, first 2 shown]
	v_add_f64 v[32:33], v[32:33], v[38:39]
	v_add_f64 v[36:37], v[64:65], v[30:31]
	v_add_f64 v[38:39], v[36:37], -v[64:65]
	v_add_f64 v[32:33], v[36:37], v[32:33]
	v_add_f64 v[40:41], v[36:37], -v[38:39]
	;; [unrolled: 2-line block ×3, first 2 shown]
	v_add_f64 v[30:31], v[30:31], -v[38:39]
	v_add_f64 v[34:35], v[36:37], -v[34:35]
	v_add_f64 v[30:31], v[30:31], v[40:41]
	v_add_f64 v[32:33], v[32:33], -v[34:35]
	v_add_f64 v[30:31], v[30:31], v[32:33]
	v_add_f64 v[32:33], v[36:37], v[30:31]
	v_add_f64 v[34:35], v[32:33], -v[36:37]
	v_add_f64 v[30:31], v[30:31], -v[34:35]
	v_mul_f64 v[34:35], v[48:49], v[32:33]
	v_fma_f64 v[32:33], v[48:49], v[32:33], -v[34:35]
	v_fmac_f64_e32 v[32:33], v[48:49], v[30:31]
	v_add_f64 v[30:31], v[34:35], v[32:33]
	v_cmp_class_f64_e64 s[2:3], v[34:35], s59
	v_cndmask_b32_e64 v57, v31, v35, s[2:3]
	v_cndmask_b32_e64 v56, v30, v34, s[2:3]
	v_add_f64 v[36:37], v[30:31], -v[34:35]
	v_mul_f64 v[30:31], v[56:57], s[46:47]
	v_rndne_f64_e32 v[60:61], v[30:31]
	v_add_f64 v[32:33], v[32:33], -v[36:37]
	v_cmp_neq_f64_e64 s[2:3], |v[56:57]|, s[44:45]
	v_fma_f64 v[64:65], s[48:49], v[60:61], v[56:57]
	v_mov_b32_e32 v30, 0xfca7ab0c
	v_mov_b32_e32 v31, 0x3e928af3
	v_cndmask_b32_e64 v59, 0, v33, s[2:3]
	v_cndmask_b32_e64 v58, 0, v32, s[2:3]
	v_fmac_f64_e32 v[64:65], s[50:51], v[60:61]
	v_pk_mov_b32 v[34:35], v[30:31], v[30:31] op_sel:[0,1]
	v_mov_b32_e32 v32, 0x623fde64
	v_mov_b32_e32 v33, 0x3ec71dee
	v_fmac_f64_e32 v[34:35], s[52:53], v[64:65]
	v_pk_mov_b32 v[36:37], v[32:33], v[32:33] op_sel:[0,1]
	v_fmac_f64_e32 v[36:37], v[64:65], v[34:35]
	v_mul_f64 v[34:35], v[48:49], 0.5
	v_trunc_f64_e32 v[38:39], v[34:35]
	v_cmp_neq_f64_e64 s[2:3], v[38:39], v[34:35]
	v_mov_b32_e32 v34, 0x7c89e6b0
	v_mov_b32_e32 v35, 0x3efa0199
	v_pk_mov_b32 v[38:39], v[34:35], v[34:35] op_sel:[0,1]
	v_fmac_f64_e32 v[38:39], v[64:65], v[36:37]
	v_mov_b32_e32 v36, 0x14761f6e
	v_mov_b32_e32 v37, 0x3f2a01a0
	v_pk_mov_b32 v[40:41], v[36:37], v[36:37] op_sel:[0,1]
	v_fmac_f64_e32 v[40:41], v[64:65], v[38:39]
	;; [unrolled: 4-line block ×7, first 2 shown]
	v_fma_f64 v[66:67], v[64:65], v[68:69], 1.0
	v_fma_f64 v[64:65], v[64:65], v[66:67], 1.0
	v_cvt_i32_f64_e32 v3, v[60:61]
	v_ldexp_f64 v[64:65], v[64:65], v3
	v_cmp_lt_f64_e64 s[4:5], s[54:55], v[56:57]
	v_mov_b32_e32 v60, 0x7ff00000
	v_cndmask_b32_e64 v3, v64, 0, s[4:5]
	v_cndmask_b32_e64 v50, v65, v60, s[4:5]
	v_cmp_ngt_f64_e64 s[6:7], s[56:57], v[56:57]
	v_and_b32_e32 v65, 0x7fffffff, v65
	v_cndmask_b32_e64 v57, 0, v50, s[6:7]
	v_cndmask_b32_e64 v56, 0, v3, s[6:7]
	v_cmp_eq_f64_e64 s[8:9], s[44:45], v[64:65]
	v_pk_mov_b32 v[66:67], v[56:57], v[56:57] op_sel:[0,1]
	s_or_b64 s[4:5], s[4:5], s[8:9]
	v_fmac_f64_e32 v[66:67], v[66:67], v[58:59]
	s_and_b64 s[4:5], s[6:7], s[4:5]
	v_cndmask_b32_e64 v3, v66, v56, s[4:5]
	v_cndmask_b32_e64 v50, v67, v57, s[4:5]
	v_trunc_f64_e32 v[56:57], v[48:49]
	v_cmp_eq_f64_e64 s[4:5], v[56:57], v[48:49]
	v_cndmask_b32_e64 v51, v27, v62, s[0:1]
	s_and_b64 s[2:3], s[4:5], s[2:3]
	s_brev_b32 s6, -2
	v_cndmask_b32_e64 v56, v62, v51, s[2:3]
	v_bfi_b32 v58, s6, v50, v56
	v_cndmask_b32_e64 v50, v26, 0, s[0:1]
	v_cndmask_b32_e64 v57, 0, v3, s[4:5]
	v_mov_b32_e32 v56, 0x7ff80000
	v_cmp_gt_f64_e64 s[0:1], 0, v[50:51]
	v_cndmask_b32_e64 v59, v56, v58, s[4:5]
	v_cndmask_b32_e64 v3, v3, v57, s[0:1]
	v_and_b32_e32 v57, 0x7fffffff, v5
	v_cndmask_b32_e64 v61, v58, v59, s[0:1]
	v_cndmask_b32_e32 v59, v57, v62, vcc
	v_cndmask_b32_e64 v58, v4, 0, vcc
	v_cmp_neq_f64_e32 vcc, v[48:49], v[58:59]
	v_cmp_gt_f64_e64 s[0:1], 1.0, v[54:55]
	s_xor_b64 s[0:1], vcc, s[0:1]
	v_cndmask_b32_e64 v64, v58, 0, s[0:1]
	v_cndmask_b32_e64 v65, v59, 0, s[0:1]
	v_cmp_eq_f64_e32 vcc, 1.0, v[54:55]
	v_cndmask_b32_e32 v65, v65, v55, vcc
	v_cndmask_b32_e32 v64, v64, v54, vcc
	v_cmp_eq_f64_e32 vcc, s[44:45], v[58:59]
	v_cndmask_b32_e32 v3, v3, v64, vcc
	v_cndmask_b32_e32 v58, v61, v65, vcc
	v_cmp_gt_f64_e32 vcc, 0, v[48:49]
	v_cndmask_b32_e64 v59, v60, 0, vcc
	v_cndmask_b32_e64 v61, 0, v51, s[2:3]
	v_bfi_b32 v59, s6, v59, v61
	v_cmp_eq_f64_e32 vcc, s[44:45], v[54:55]
	v_cndmask_b32_e32 v64, v58, v59, vcc
	v_cndmask_b32_e64 v3, v3, 0, vcc
	v_mov_b32_e32 v54, s15
	v_add_co_u32_e32 v28, vcc, s14, v28
	v_addc_co_u32_e32 v29, vcc, v54, v29, vcc
	global_load_dwordx2 v[28:29], v[28:29], off
	v_ashrrev_i32_e32 v61, 31, v8
	v_mul_lo_u32 v58, v8, s43
	v_mul_lo_u32 v59, v61, s42
	v_mad_u64_u32 v[54:55], s[0:1], v8, s42, 0
	v_add3_u32 v55, v55, v58, v59
	v_lshlrev_b64 v[54:55], 3, v[54:55]
	v_mov_b32_e32 v58, s17
	v_add_co_u32_e32 v59, vcc, s16, v54
	v_addc_co_u32_e32 v58, vcc, v58, v55, vcc
	v_mul_lo_u32 v65, v25, s36
	v_mul_lo_u32 v66, v24, s37
	v_mad_u64_u32 v[54:55], s[0:1], v24, s36, 0
	v_add3_u32 v55, v55, v66, v65
	v_lshlrev_b64 v[54:55], 3, v[54:55]
	v_add_co_u32_e32 v54, vcc, v59, v54
	v_addc_co_u32_e32 v55, vcc, v58, v55, vcc
	v_mov_b32_e32 v58, s13
	v_add_co_u32_e32 v59, vcc, s12, v52
	v_addc_co_u32_e32 v65, vcc, v58, v53, vcc
	v_mul_lo_u32 v58, v25, s26
	v_mul_lo_u32 v66, v24, s27
	v_mad_u64_u32 v[52:53], s[0:1], v24, s26, 0
	v_add3_u32 v53, v53, v66, v58
	v_sub_co_u32_e32 v52, vcc, v9, v52
	v_subb_co_u32_e32 v53, vcc, v63, v53, vcc
	v_mad_u64_u32 v[24:25], s[0:1], v52, s24, v[24:25]
	v_mul_lo_u32 v9, v52, s25
	v_mul_lo_u32 v58, v53, s24
	v_add3_u32 v9, v58, v25, v9
	v_mul_lo_u32 v9, v9, s36
	v_mul_lo_u32 v58, v24, s37
	v_mad_u64_u32 v[24:25], s[0:1], v24, s36, 0
	v_add3_u32 v25, v25, v58, v9
	v_lshlrev_b64 v[24:25], 3, v[24:25]
	v_add_co_u32_e32 v58, vcc, v59, v24
	v_addc_co_u32_e32 v59, vcc, v65, v25, vcc
	v_mul_lo_u32 v24, v8, s11
	v_mul_lo_u32 v25, v61, s10
	v_mad_u64_u32 v[8:9], s[2:3], v8, s10, 0
	v_add3_u32 v9, v9, v24, v25
	v_lshlrev_b64 v[8:9], 3, v[8:9]
	v_mov_b32_e32 v24, s19
	v_add_co_u32_e32 v61, vcc, s18, v8
	s_lshl_b64 s[0:1], s[36:37], 3
	v_addc_co_u32_e32 v63, vcc, v24, v9, vcc
	v_mul_lo_u32 v8, v53, s36
	v_mul_lo_u32 v9, v52, s37
	v_mad_u64_u32 v[24:25], s[2:3], v52, s36, 0
	v_add3_u32 v25, v25, v9, v8
	v_mov_b32_e32 v9, s1
	v_add_co_u32_e32 v8, vcc, s0, v54
	v_addc_co_u32_e32 v9, vcc, v55, v9, vcc
	v_lshlrev_b64 v[24:25], 3, v[24:25]
	v_add_co_u32_e32 v61, vcc, v61, v24
	v_addc_co_u32_e32 v63, vcc, v63, v25, vcc
	v_add_co_u32_e32 v24, vcc, v54, v0
	v_addc_co_u32_e32 v25, vcc, v55, v1, vcc
	s_waitcnt lgkmcnt(0)
	s_mul_i32 s2, s58, s33
	v_cmp_o_f64_e32 vcc, v[50:51], v[48:49]
	s_ashr_i32 s3, s2, 31
	s_mov_b64 s[8:9], 0
	v_cmp_eq_f64_e64 s[0:1], 0, v[26:27]
	v_cmp_lt_f64_e64 s[10:11], s[22:23], 1.0
	v_cndmask_b32_e32 v26, 0, v3, vcc
	v_cndmask_b32_e32 v27, v56, v64, vcc
	s_lshl_b64 s[12:13], s[2:3], 3
	s_branch .LBB32_12
.LBB32_11:                              ;   in Loop: Header=BB32_12 Depth=1
	s_or_b64 exec, exec, s[14:15]
	v_add_co_u32_e32 v50, vcc, v58, v0
	v_addc_co_u32_e32 v51, vcc, v59, v1, vcc
	v_mov_b32_e32 v3, s13
	v_add_co_u32_e32 v24, vcc, s12, v24
	v_addc_co_u32_e32 v25, vcc, v25, v3, vcc
	v_cmp_ge_u64_e32 vcc, v[24:25], v[8:9]
	s_or_b64 s[8:9], vcc, s[8:9]
	v_add_co_u32_e32 v0, vcc, s12, v0
	v_addc_co_u32_e32 v1, vcc, v1, v3, vcc
	global_store_dwordx2 v[50:51], v[48:49], off
	s_andn2_b64 exec, exec, s[8:9]
	s_cbranch_execz .LBB32_14
.LBB32_12:                              ; =>This Inner Loop Header: Depth=1
	v_add_co_u32_e32 v48, vcc, v61, v0
	v_addc_co_u32_e32 v49, vcc, v63, v1, vcc
	v_add_co_u32_e32 v50, vcc, v54, v0
	v_addc_co_u32_e32 v51, vcc, v55, v1, vcc
	global_load_dwordx2 v[50:51], v[50:51], off
	s_nop 0
	global_load_dwordx2 v[48:49], v[48:49], off
	s_waitcnt vmcnt(0)
	v_add_f64 v[52:53], v[50:51], -v[48:49]
	v_cmp_eq_f64_e32 vcc, 0, v[52:53]
	s_and_b64 s[2:3], s[10:11], vcc
	s_or_b64 s[2:3], s[0:1], s[2:3]
	s_xor_b64 s[2:3], s[2:3], -1
	v_pk_mov_b32 v[48:49], 0, 0
	s_and_saveexec_b64 s[14:15], s[2:3]
	s_cbranch_execz .LBB32_11
; %bb.13:                               ;   in Loop: Header=BB32_12 Depth=1
	v_cmp_eq_f64_e64 vcc, |v[52:53]|, 1.0
	v_cndmask_b32_e32 v49, v5, v62, vcc
	v_cndmask_b32_e64 v48, v4, 0, vcc
	v_and_b32_e32 v3, 0x7fffffff, v53
	v_cmp_neq_f64_e64 s[2:3], 0, v[48:49]
	v_cndmask_b32_e64 v51, v62, v3, s[2:3]
	v_cndmask_b32_e64 v50, 0, v52, s[2:3]
	v_frexp_mant_f64_e32 v[64:65], v[50:51]
	v_cmp_gt_f64_e64 s[2:3], s[20:21], v[64:65]
	v_cndmask_b32_e64 v3, v62, 2.0, s[2:3]
	v_frexp_exp_i32_f64_e32 v66, v[50:51]
	v_mul_f64 v[64:65], v[64:65], v[2:3]
	v_subbrev_co_u32_e64 v3, s[2:3], 0, v66, s[2:3]
	v_add_f64 v[66:67], v[64:65], 1.0
	v_rcp_f64_e32 v[68:69], v[66:67]
	v_add_f64 v[72:73], v[66:67], -1.0
	v_add_f64 v[70:71], v[64:65], -1.0
	v_add_f64 v[64:65], v[64:65], -v[72:73]
	v_fma_f64 v[72:73], -v[66:67], v[68:69], 1.0
	v_fmac_f64_e32 v[68:69], v[72:73], v[68:69]
	v_fma_f64 v[72:73], -v[66:67], v[68:69], 1.0
	v_fmac_f64_e32 v[68:69], v[72:73], v[68:69]
	v_mul_f64 v[72:73], v[70:71], v[68:69]
	v_mul_f64 v[74:75], v[66:67], v[72:73]
	v_fma_f64 v[66:67], v[72:73], v[66:67], -v[74:75]
	v_fmac_f64_e32 v[66:67], v[72:73], v[64:65]
	v_add_f64 v[64:65], v[74:75], v[66:67]
	v_add_f64 v[76:77], v[70:71], -v[64:65]
	v_add_f64 v[74:75], v[64:65], -v[74:75]
	;; [unrolled: 1-line block ×5, first 2 shown]
	v_add_f64 v[64:65], v[66:67], v[64:65]
	v_add_f64 v[64:65], v[76:77], v[64:65]
	v_mul_f64 v[64:65], v[68:69], v[64:65]
	v_add_f64 v[66:67], v[72:73], v[64:65]
	v_add_f64 v[68:69], v[66:67], -v[72:73]
	v_add_f64 v[64:65], v[64:65], -v[68:69]
	v_mul_f64 v[68:69], v[66:67], v[66:67]
	v_fma_f64 v[70:71], v[66:67], v[66:67], -v[68:69]
	v_add_f64 v[72:73], v[64:65], v[64:65]
	v_fmac_f64_e32 v[70:71], v[66:67], v[72:73]
	v_add_f64 v[72:73], v[68:69], v[70:71]
	v_add_f64 v[68:69], v[72:73], -v[68:69]
	v_add_f64 v[68:69], v[70:71], -v[68:69]
	v_pk_mov_b32 v[70:71], v[6:7], v[6:7] op_sel:[0,1]
	v_fmac_f64_e32 v[70:71], s[28:29], v[72:73]
	v_pk_mov_b32 v[74:75], v[10:11], v[10:11] op_sel:[0,1]
	v_fmac_f64_e32 v[74:75], v[72:73], v[70:71]
	;; [unrolled: 2-line block ×8, first 2 shown]
	v_cvt_f64_i32_e32 v[70:71], v3
	v_mul_f64 v[76:77], v[70:71], s[30:31]
	v_fma_f64 v[78:79], v[70:71], s[30:31], -v[76:77]
	v_fmac_f64_e32 v[78:79], s[34:35], v[70:71]
	v_add_f64 v[70:71], v[76:77], v[78:79]
	v_add_f64 v[76:77], v[70:71], -v[76:77]
	v_add_f64 v[76:77], v[78:79], -v[76:77]
	v_mul_f64 v[78:79], v[66:67], v[72:73]
	v_fma_f64 v[80:81], v[72:73], v[66:67], -v[78:79]
	v_mul_f64 v[82:83], v[72:73], v[74:75]
	v_fmac_f64_e32 v[80:81], v[72:73], v[64:65]
	v_fma_f64 v[72:73], v[72:73], v[74:75], -v[82:83]
	v_fmac_f64_e32 v[72:73], v[68:69], v[74:75]
	v_fmac_f64_e32 v[80:81], v[68:69], v[66:67]
	v_add_f64 v[68:69], v[82:83], v[72:73]
	v_add_f64 v[74:75], v[68:69], -v[82:83]
	v_add_f64 v[72:73], v[72:73], -v[74:75]
	s_mov_b32 s38, s20
	v_add_f64 v[74:75], v[68:69], s[20:21]
	v_add_f64 v[82:83], v[74:75], s[38:39]
	v_add_f64 v[68:69], v[68:69], -v[82:83]
	v_add_f64 v[72:73], v[72:73], s[40:41]
	v_add_f64 v[68:69], v[72:73], v[68:69]
	;; [unrolled: 1-line block ×3, first 2 shown]
	v_add_f64 v[74:75], v[74:75], -v[72:73]
	v_add_f64 v[68:69], v[68:69], v[74:75]
	v_add_f64 v[74:75], v[78:79], v[80:81]
	v_mul_f64 v[82:83], v[74:75], v[72:73]
	v_fma_f64 v[84:85], v[74:75], v[72:73], -v[82:83]
	v_fmac_f64_e32 v[84:85], v[74:75], v[68:69]
	v_add_f64 v[68:69], v[74:75], -v[78:79]
	v_add_f64 v[68:69], v[80:81], -v[68:69]
	v_fmac_f64_e32 v[84:85], v[68:69], v[72:73]
	v_ldexp_f64 v[66:67], v[66:67], 1
	v_add_f64 v[68:69], v[82:83], v[84:85]
	v_add_f64 v[72:73], v[68:69], -v[82:83]
	v_add_f64 v[74:75], v[66:67], v[68:69]
	v_ldexp_f64 v[64:65], v[64:65], 1
	v_add_f64 v[72:73], v[84:85], -v[72:73]
	v_add_f64 v[66:67], v[74:75], -v[66:67]
	;; [unrolled: 1-line block ×3, first 2 shown]
	v_add_f64 v[64:65], v[64:65], v[72:73]
	v_add_f64 v[64:65], v[64:65], v[66:67]
	;; [unrolled: 1-line block ×3, first 2 shown]
	v_add_f64 v[68:69], v[66:67], -v[74:75]
	v_add_f64 v[64:65], v[64:65], -v[68:69]
	v_add_f64 v[68:69], v[70:71], v[66:67]
	v_add_f64 v[72:73], v[68:69], -v[70:71]
	v_add_f64 v[74:75], v[68:69], -v[72:73]
	;; [unrolled: 1-line block ×4, first 2 shown]
	v_add_f64 v[66:67], v[66:67], v[70:71]
	v_add_f64 v[70:71], v[76:77], v[64:65]
	v_add_f64 v[72:73], v[70:71], -v[76:77]
	v_add_f64 v[66:67], v[70:71], v[66:67]
	v_add_f64 v[74:75], v[70:71], -v[72:73]
	v_add_f64 v[70:71], v[68:69], v[66:67]
	v_add_f64 v[74:75], v[76:77], -v[74:75]
	v_add_f64 v[64:65], v[64:65], -v[72:73]
	v_add_f64 v[68:69], v[70:71], -v[68:69]
	v_add_f64 v[64:65], v[64:65], v[74:75]
	v_add_f64 v[66:67], v[66:67], -v[68:69]
	v_add_f64 v[64:65], v[64:65], v[66:67]
	v_add_f64 v[66:67], v[70:71], v[64:65]
	v_add_f64 v[68:69], v[66:67], -v[70:71]
	v_cmp_lt_f64_e64 s[2:3], 0, v[52:53]
	v_add_f64 v[64:65], v[64:65], -v[68:69]
	v_mul_f64 v[68:69], v[48:49], v[66:67]
	v_cndmask_b32_e64 v3, 0, 1, s[2:3]
	v_cmp_gt_f64_e64 s[2:3], 0, v[52:53]
	v_fma_f64 v[66:67], v[48:49], v[66:67], -v[68:69]
	v_subbrev_co_u32_e64 v3, s[2:3], 0, v3, s[2:3]
	v_fmac_f64_e32 v[66:67], v[48:49], v[64:65]
	v_add_f64 v[64:65], v[68:69], v[66:67]
	v_cmp_class_f64_e64 s[2:3], v[68:69], s59
	v_add_f64 v[70:71], v[64:65], -v[68:69]
	v_cndmask_b32_e64 v65, v65, v69, s[2:3]
	v_cndmask_b32_e64 v64, v64, v68, s[2:3]
	v_mul_f64 v[68:69], v[64:65], s[46:47]
	v_rndne_f64_e32 v[68:69], v[68:69]
	s_mov_b32 s48, s30
	v_add_f64 v[66:67], v[66:67], -v[70:71]
	v_fma_f64 v[70:71], s[48:49], v[68:69], v[64:65]
	s_mov_b32 s50, s34
	v_fmac_f64_e32 v[70:71], s[50:51], v[68:69]
	v_pk_mov_b32 v[72:73], v[30:31], v[30:31] op_sel:[0,1]
	v_fmac_f64_e32 v[72:73], s[52:53], v[70:71]
	v_pk_mov_b32 v[74:75], v[32:33], v[32:33] op_sel:[0,1]
	v_fmac_f64_e32 v[74:75], v[70:71], v[72:73]
	v_pk_mov_b32 v[72:73], v[34:35], v[34:35] op_sel:[0,1]
	v_fmac_f64_e32 v[72:73], v[70:71], v[74:75]
	v_pk_mov_b32 v[74:75], v[36:37], v[36:37] op_sel:[0,1]
	v_fmac_f64_e32 v[74:75], v[70:71], v[72:73]
	v_pk_mov_b32 v[72:73], v[38:39], v[38:39] op_sel:[0,1]
	v_fmac_f64_e32 v[72:73], v[70:71], v[74:75]
	v_pk_mov_b32 v[74:75], v[40:41], v[40:41] op_sel:[0,1]
	v_fmac_f64_e32 v[74:75], v[70:71], v[72:73]
	v_pk_mov_b32 v[72:73], v[42:43], v[42:43] op_sel:[0,1]
	v_fmac_f64_e32 v[72:73], v[70:71], v[74:75]
	v_pk_mov_b32 v[74:75], v[44:45], v[44:45] op_sel:[0,1]
	v_fmac_f64_e32 v[74:75], v[70:71], v[72:73]
	v_pk_mov_b32 v[72:73], v[46:47], v[46:47] op_sel:[0,1]
	v_fmac_f64_e32 v[72:73], v[70:71], v[74:75]
	v_fma_f64 v[72:73], v[70:71], v[72:73], 1.0
	v_cvt_f64_i32_e32 v[52:53], v3
	v_cmp_neq_f64_e64 s[2:3], |v[64:65]|, s[44:45]
	v_fma_f64 v[70:71], v[70:71], v[72:73], 1.0
	v_cvt_i32_f64_e32 v3, v[68:69]
	v_cndmask_b32_e64 v67, 0, v67, s[2:3]
	v_cndmask_b32_e64 v66, 0, v66, s[2:3]
	v_ldexp_f64 v[68:69], v[70:71], v3
	v_cmp_lt_f64_e64 s[2:3], s[54:55], v[64:65]
	v_cndmask_b32_e64 v3, v68, 0, s[2:3]
	v_cndmask_b32_e64 v70, v69, v60, s[2:3]
	v_cmp_ngt_f64_e64 s[4:5], s[56:57], v[64:65]
	v_and_b32_e32 v69, 0x7fffffff, v69
	v_cndmask_b32_e64 v65, 0, v70, s[4:5]
	v_cndmask_b32_e64 v64, 0, v3, s[4:5]
	v_cmp_eq_f64_e64 s[6:7], s[44:45], v[68:69]
	v_pk_mov_b32 v[70:71], v[64:65], v[64:65] op_sel:[0,1]
	s_or_b64 s[2:3], s[2:3], s[6:7]
	v_fmac_f64_e32 v[70:71], v[70:71], v[66:67]
	s_and_b64 s[2:3], s[4:5], s[2:3]
	v_cndmask_b32_e64 v3, v71, v65, s[2:3]
	v_cndmask_b32_e64 v66, v70, v64, s[2:3]
	v_cndmask_b32_e32 v65, v57, v62, vcc
	v_cndmask_b32_e64 v64, v4, 0, vcc
	v_cmp_neq_f64_e32 vcc, v[48:49], v[64:65]
	v_cmp_gt_f64_e64 s[2:3], 1.0, v[50:51]
	s_xor_b64 s[2:3], vcc, s[2:3]
	v_cndmask_b32_e64 v67, v65, 0, s[2:3]
	v_cndmask_b32_e64 v68, v64, 0, s[2:3]
	v_cmp_eq_f64_e32 vcc, 1.0, v[50:51]
	v_and_b32_e32 v3, 0x7fffffff, v3
	v_cndmask_b32_e32 v68, v68, v50, vcc
	v_cndmask_b32_e32 v67, v67, v51, vcc
	v_cmp_eq_f64_e32 vcc, s[44:45], v[64:65]
	v_cmp_eq_f64_e64 s[2:3], 0, v[50:51]
	v_cmp_gt_f64_e64 s[4:5], 0, v[48:49]
	v_cndmask_b32_e32 v3, v3, v67, vcc
	v_cndmask_b32_e32 v64, v66, v68, vcc
	v_cmp_eq_f64_e32 vcc, s[44:45], v[50:51]
	s_xor_b64 s[4:5], s[4:5], s[2:3]
	v_cndmask_b32_e64 v65, v60, 0, s[4:5]
	s_or_b64 vcc, vcc, s[2:3]
	v_cndmask_b32_e64 v64, v64, 0, vcc
	v_cndmask_b32_e32 v3, v3, v65, vcc
	v_cmp_o_f64_e32 vcc, v[50:51], v[48:49]
	v_cndmask_b32_e32 v49, v56, v3, vcc
	v_cndmask_b32_e32 v48, 0, v64, vcc
	v_mul_f64 v[48:49], v[48:49], v[52:53]
	v_mul_f64 v[48:49], v[28:29], v[48:49]
	v_div_scale_f64 v[50:51], s[2:3], v[26:27], v[26:27], v[48:49]
	v_rcp_f64_e32 v[52:53], v[50:51]
	v_fma_f64 v[64:65], -v[50:51], v[52:53], 1.0
	v_fmac_f64_e32 v[52:53], v[52:53], v[64:65]
	v_fma_f64 v[64:65], -v[50:51], v[52:53], 1.0
	v_fmac_f64_e32 v[52:53], v[52:53], v[64:65]
	v_div_scale_f64 v[64:65], vcc, v[48:49], v[26:27], v[48:49]
	v_mul_f64 v[66:67], v[64:65], v[52:53]
	v_fma_f64 v[50:51], -v[50:51], v[66:67], v[64:65]
	s_nop 1
	v_div_fmas_f64 v[50:51], v[50:51], v[52:53], v[66:67]
	v_div_fixup_f64 v[48:49], v[50:51], v[26:27], v[48:49]
	s_branch .LBB32_11
.LBB32_14:
	s_endpgm
	.section	.rodata,"a",@progbits
	.p2align	6, 0x0
	.amdhsa_kernel _ZN2at6native12_GLOBAL__N_131cdist_backward_kernel_cuda_implIdNS1_5distsIdE6lt_twoEEEvPT_PKS6_S9_S9_S9_S6_lllllll
		.amdhsa_group_segment_fixed_size 0
		.amdhsa_private_segment_fixed_size 0
		.amdhsa_kernarg_size 360
		.amdhsa_user_sgpr_count 6
		.amdhsa_user_sgpr_private_segment_buffer 1
		.amdhsa_user_sgpr_dispatch_ptr 0
		.amdhsa_user_sgpr_queue_ptr 0
		.amdhsa_user_sgpr_kernarg_segment_ptr 1
		.amdhsa_user_sgpr_dispatch_id 0
		.amdhsa_user_sgpr_flat_scratch_init 0
		.amdhsa_user_sgpr_kernarg_preload_length 0
		.amdhsa_user_sgpr_kernarg_preload_offset 0
		.amdhsa_user_sgpr_private_segment_size 0
		.amdhsa_uses_dynamic_stack 0
		.amdhsa_system_sgpr_private_segment_wavefront_offset 0
		.amdhsa_system_sgpr_workgroup_id_x 1
		.amdhsa_system_sgpr_workgroup_id_y 1
		.amdhsa_system_sgpr_workgroup_id_z 1
		.amdhsa_system_sgpr_workgroup_info 0
		.amdhsa_system_vgpr_workitem_id 1
		.amdhsa_next_free_vgpr 86
		.amdhsa_next_free_sgpr 60
		.amdhsa_accum_offset 88
		.amdhsa_reserve_vcc 1
		.amdhsa_reserve_flat_scratch 0
		.amdhsa_float_round_mode_32 0
		.amdhsa_float_round_mode_16_64 0
		.amdhsa_float_denorm_mode_32 3
		.amdhsa_float_denorm_mode_16_64 3
		.amdhsa_dx10_clamp 1
		.amdhsa_ieee_mode 1
		.amdhsa_fp16_overflow 0
		.amdhsa_tg_split 0
		.amdhsa_exception_fp_ieee_invalid_op 0
		.amdhsa_exception_fp_denorm_src 0
		.amdhsa_exception_fp_ieee_div_zero 0
		.amdhsa_exception_fp_ieee_overflow 0
		.amdhsa_exception_fp_ieee_underflow 0
		.amdhsa_exception_fp_ieee_inexact 0
		.amdhsa_exception_int_div_zero 0
	.end_amdhsa_kernel
	.section	.text._ZN2at6native12_GLOBAL__N_131cdist_backward_kernel_cuda_implIdNS1_5distsIdE6lt_twoEEEvPT_PKS6_S9_S9_S9_S6_lllllll,"axG",@progbits,_ZN2at6native12_GLOBAL__N_131cdist_backward_kernel_cuda_implIdNS1_5distsIdE6lt_twoEEEvPT_PKS6_S9_S9_S9_S6_lllllll,comdat
.Lfunc_end32:
	.size	_ZN2at6native12_GLOBAL__N_131cdist_backward_kernel_cuda_implIdNS1_5distsIdE6lt_twoEEEvPT_PKS6_S9_S9_S9_S6_lllllll, .Lfunc_end32-_ZN2at6native12_GLOBAL__N_131cdist_backward_kernel_cuda_implIdNS1_5distsIdE6lt_twoEEEvPT_PKS6_S9_S9_S9_S6_lllllll
                                        ; -- End function
	.section	.AMDGPU.csdata,"",@progbits
; Kernel info:
; codeLenInByte = 5980
; NumSgprs: 64
; NumVgprs: 86
; NumAgprs: 0
; TotalNumVgprs: 86
; ScratchSize: 0
; MemoryBound: 0
; FloatMode: 240
; IeeeMode: 1
; LDSByteSize: 0 bytes/workgroup (compile time only)
; SGPRBlocks: 7
; VGPRBlocks: 10
; NumSGPRsForWavesPerEU: 64
; NumVGPRsForWavesPerEU: 86
; AccumOffset: 88
; Occupancy: 5
; WaveLimiterHint : 0
; COMPUTE_PGM_RSRC2:SCRATCH_EN: 0
; COMPUTE_PGM_RSRC2:USER_SGPR: 6
; COMPUTE_PGM_RSRC2:TRAP_HANDLER: 0
; COMPUTE_PGM_RSRC2:TGID_X_EN: 1
; COMPUTE_PGM_RSRC2:TGID_Y_EN: 1
; COMPUTE_PGM_RSRC2:TGID_Z_EN: 1
; COMPUTE_PGM_RSRC2:TIDIG_COMP_CNT: 1
; COMPUTE_PGM_RSRC3_GFX90A:ACCUM_OFFSET: 21
; COMPUTE_PGM_RSRC3_GFX90A:TG_SPLIT: 0
	.section	.text._ZN2at6native12_GLOBAL__N_131cdist_backward_kernel_cuda_implIdNS1_5distsIdE3twoEEEvPT_PKS6_S9_S9_S9_S6_lllllll,"axG",@progbits,_ZN2at6native12_GLOBAL__N_131cdist_backward_kernel_cuda_implIdNS1_5distsIdE3twoEEEvPT_PKS6_S9_S9_S9_S6_lllllll,comdat
	.globl	_ZN2at6native12_GLOBAL__N_131cdist_backward_kernel_cuda_implIdNS1_5distsIdE3twoEEEvPT_PKS6_S9_S9_S9_S6_lllllll ; -- Begin function _ZN2at6native12_GLOBAL__N_131cdist_backward_kernel_cuda_implIdNS1_5distsIdE3twoEEEvPT_PKS6_S9_S9_S9_S6_lllllll
	.p2align	8
	.type	_ZN2at6native12_GLOBAL__N_131cdist_backward_kernel_cuda_implIdNS1_5distsIdE3twoEEEvPT_PKS6_S9_S9_S9_S6_lllllll,@function
_ZN2at6native12_GLOBAL__N_131cdist_backward_kernel_cuda_implIdNS1_5distsIdE3twoEEEvPT_PKS6_S9_S9_S9_S6_lllllll: ; @_ZN2at6native12_GLOBAL__N_131cdist_backward_kernel_cuda_implIdNS1_5distsIdE3twoEEEvPT_PKS6_S9_S9_S9_S6_lllllll
; %bb.0:
	s_load_dwordx2 s[0:1], s[4:5], 0x70
	s_load_dwordx8 s[12:19], s[4:5], 0x30
	s_add_u32 s2, s4, 0x68
	s_addc_u32 s3, s5, 0
	v_bfe_u32 v1, v0, 10, 10
	s_waitcnt lgkmcnt(0)
	s_mul_i32 s0, s0, s7
	s_add_i32 s0, s0, s8
	s_lshr_b32 s7, s1, 16
	s_mul_i32 s0, s0, s7
	v_add_u32_e32 v2, s0, v1
	v_ashrrev_i32_e32 v3, 31, v2
	v_cmp_gt_i64_e32 vcc, s[18:19], v[2:3]
	s_and_saveexec_b64 s[8:9], vcc
	s_cbranch_execz .LBB33_14
; %bb.1:
	s_load_dwordx8 s[20:27], s[4:5], 0x50
	s_and_b32 s18, s1, 0xffff
	s_mul_i32 s6, s6, s18
	v_and_b32_e32 v0, 0x3ff, v0
	v_add_u32_e32 v0, s6, v0
	v_ashrrev_i32_e32 v1, 31, v0
	v_cmp_gt_i64_e32 vcc, s[16:17], v[0:1]
	s_and_b64 exec, exec, vcc
	s_cbranch_execz .LBB33_14
; %bb.2:
	s_waitcnt lgkmcnt(0)
	v_or_b32_e32 v5, s21, v3
	v_mov_b32_e32 v4, 0
	v_cmp_ne_u64_e32 vcc, 0, v[4:5]
                                        ; implicit-def: $vgpr4_vgpr5
	s_and_saveexec_b64 s[0:1], vcc
	s_xor_b64 s[6:7], exec, s[0:1]
	s_cbranch_execz .LBB33_4
; %bb.3:
	s_ashr_i32 s8, s21, 31
	s_add_u32 s0, s20, s8
	s_mov_b32 s9, s8
	s_addc_u32 s1, s21, s8
	s_xor_b64 s[10:11], s[0:1], s[8:9]
	v_cvt_f32_u32_e32 v4, s10
	v_cvt_f32_u32_e32 v5, s11
	s_sub_u32 s0, 0, s10
	s_subb_u32 s1, 0, s11
	v_madmk_f32 v4, v5, 0x4f800000, v4
	v_rcp_f32_e32 v4, v4
	v_mul_f32_e32 v4, 0x5f7ffffc, v4
	v_mul_f32_e32 v5, 0x2f800000, v4
	v_trunc_f32_e32 v5, v5
	v_madmk_f32 v4, v5, 0xcf800000, v4
	v_cvt_u32_f32_e32 v5, v5
	v_cvt_u32_f32_e32 v4, v4
	v_mul_lo_u32 v6, s0, v5
	v_mul_hi_u32 v8, s0, v4
	v_mul_lo_u32 v7, s1, v4
	v_add_u32_e32 v6, v8, v6
	v_mul_lo_u32 v9, s0, v4
	v_add_u32_e32 v6, v6, v7
	v_mul_lo_u32 v8, v4, v6
	v_mul_hi_u32 v10, v4, v9
	v_mul_hi_u32 v7, v4, v6
	v_add_co_u32_e32 v8, vcc, v10, v8
	v_addc_co_u32_e32 v7, vcc, 0, v7, vcc
	v_mul_hi_u32 v11, v5, v9
	v_mul_lo_u32 v9, v5, v9
	v_add_co_u32_e32 v8, vcc, v8, v9
	v_mul_hi_u32 v10, v5, v6
	v_addc_co_u32_e32 v7, vcc, v7, v11, vcc
	v_addc_co_u32_e32 v8, vcc, 0, v10, vcc
	v_mul_lo_u32 v6, v5, v6
	v_add_co_u32_e32 v6, vcc, v7, v6
	v_addc_co_u32_e32 v7, vcc, 0, v8, vcc
	v_add_co_u32_e32 v4, vcc, v4, v6
	v_addc_co_u32_e32 v5, vcc, v5, v7, vcc
	v_mul_lo_u32 v6, s0, v5
	v_mul_hi_u32 v7, s0, v4
	v_add_u32_e32 v6, v7, v6
	v_mul_lo_u32 v7, s1, v4
	v_add_u32_e32 v6, v6, v7
	v_mul_lo_u32 v8, s0, v4
	v_mul_hi_u32 v9, v5, v8
	v_mul_lo_u32 v10, v5, v8
	v_mul_lo_u32 v12, v4, v6
	v_mul_hi_u32 v8, v4, v8
	v_mul_hi_u32 v11, v4, v6
	v_add_co_u32_e32 v8, vcc, v8, v12
	v_addc_co_u32_e32 v11, vcc, 0, v11, vcc
	v_add_co_u32_e32 v8, vcc, v8, v10
	v_mul_hi_u32 v7, v5, v6
	v_addc_co_u32_e32 v8, vcc, v11, v9, vcc
	v_addc_co_u32_e32 v7, vcc, 0, v7, vcc
	v_mul_lo_u32 v6, v5, v6
	v_add_co_u32_e32 v6, vcc, v8, v6
	v_addc_co_u32_e32 v7, vcc, 0, v7, vcc
	v_add_co_u32_e32 v6, vcc, v4, v6
	v_addc_co_u32_e32 v7, vcc, v5, v7, vcc
	v_ashrrev_i32_e32 v8, 31, v3
	v_add_co_u32_e32 v4, vcc, v2, v8
	v_addc_co_u32_e32 v5, vcc, v3, v8, vcc
	v_xor_b32_e32 v10, v4, v8
	v_xor_b32_e32 v9, v5, v8
	v_mad_u64_u32 v[4:5], s[0:1], v10, v7, 0
	v_mul_hi_u32 v11, v10, v6
	v_add_co_u32_e32 v11, vcc, v11, v4
	v_addc_co_u32_e32 v12, vcc, 0, v5, vcc
	v_mad_u64_u32 v[4:5], s[0:1], v9, v7, 0
	v_mad_u64_u32 v[6:7], s[0:1], v9, v6, 0
	v_add_co_u32_e32 v6, vcc, v11, v6
	v_addc_co_u32_e32 v6, vcc, v12, v7, vcc
	v_addc_co_u32_e32 v5, vcc, 0, v5, vcc
	v_add_co_u32_e32 v6, vcc, v6, v4
	v_addc_co_u32_e32 v7, vcc, 0, v5, vcc
	v_mul_lo_u32 v11, s11, v6
	v_mul_lo_u32 v12, s10, v7
	v_mad_u64_u32 v[4:5], s[0:1], s10, v6, 0
	v_add3_u32 v5, v5, v12, v11
	v_sub_u32_e32 v11, v9, v5
	v_mov_b32_e32 v12, s11
	v_sub_co_u32_e32 v4, vcc, v10, v4
	v_subb_co_u32_e64 v10, s[0:1], v11, v12, vcc
	v_subrev_co_u32_e64 v11, s[0:1], s10, v4
	v_subbrev_co_u32_e64 v10, s[0:1], 0, v10, s[0:1]
	v_cmp_le_u32_e64 s[0:1], s11, v10
	v_cndmask_b32_e64 v12, 0, -1, s[0:1]
	v_cmp_le_u32_e64 s[0:1], s10, v11
	v_cndmask_b32_e64 v11, 0, -1, s[0:1]
	v_cmp_eq_u32_e64 s[0:1], s11, v10
	v_cndmask_b32_e64 v10, v12, v11, s[0:1]
	v_add_co_u32_e64 v11, s[0:1], 2, v6
	v_subb_co_u32_e32 v5, vcc, v9, v5, vcc
	v_addc_co_u32_e64 v12, s[0:1], 0, v7, s[0:1]
	v_cmp_le_u32_e32 vcc, s11, v5
	v_add_co_u32_e64 v13, s[0:1], 1, v6
	v_cndmask_b32_e64 v9, 0, -1, vcc
	v_cmp_le_u32_e32 vcc, s10, v4
	v_addc_co_u32_e64 v14, s[0:1], 0, v7, s[0:1]
	v_cndmask_b32_e64 v4, 0, -1, vcc
	v_cmp_eq_u32_e32 vcc, s11, v5
	v_cmp_ne_u32_e64 s[0:1], 0, v10
	v_cndmask_b32_e32 v4, v9, v4, vcc
	v_cndmask_b32_e64 v10, v14, v12, s[0:1]
	v_cmp_ne_u32_e32 vcc, 0, v4
	v_cndmask_b32_e64 v5, v13, v11, s[0:1]
	v_cndmask_b32_e32 v4, v7, v10, vcc
	v_cndmask_b32_e32 v5, v6, v5, vcc
	v_xor_b32_e32 v6, s8, v8
	v_xor_b32_e32 v7, v4, v6
	;; [unrolled: 1-line block ×3, first 2 shown]
	v_sub_co_u32_e32 v4, vcc, v4, v6
	v_subb_co_u32_e32 v5, vcc, v7, v6, vcc
.LBB33_4:
	s_andn2_saveexec_b64 s[0:1], s[6:7]
	s_cbranch_execz .LBB33_6
; %bb.5:
	v_cvt_f32_u32_e32 v4, s20
	s_sub_i32 s6, 0, s20
	v_rcp_iflag_f32_e32 v4, v4
	v_mul_f32_e32 v4, 0x4f7ffffe, v4
	v_cvt_u32_f32_e32 v4, v4
	v_mul_lo_u32 v5, s6, v4
	v_mul_hi_u32 v5, v4, v5
	v_add_u32_e32 v4, v4, v5
	v_mul_hi_u32 v4, v2, v4
	v_mul_lo_u32 v5, v4, s20
	v_sub_u32_e32 v5, v2, v5
	v_add_u32_e32 v6, 1, v4
	v_subrev_u32_e32 v7, s20, v5
	v_cmp_le_u32_e32 vcc, s20, v5
	v_cndmask_b32_e32 v5, v5, v7, vcc
	v_cndmask_b32_e32 v4, v4, v6, vcc
	v_add_u32_e32 v6, 1, v4
	v_cmp_le_u32_e32 vcc, s20, v5
	v_cndmask_b32_e32 v4, v4, v6, vcc
	v_mov_b32_e32 v5, 0
.LBB33_6:
	s_or_b64 exec, exec, s[0:1]
	v_mul_lo_u32 v5, v5, s20
	v_mul_lo_u32 v8, v4, s21
	v_mad_u64_u32 v[6:7], s[0:1], v4, s20, 0
	v_add3_u32 v7, v7, v8, v5
	v_sub_co_u32_e32 v5, vcc, v2, v6
	v_subb_co_u32_e32 v7, vcc, v3, v7, vcc
	v_or_b32_e32 v9, s15, v7
	v_mov_b32_e32 v8, 0
	v_cmp_ne_u64_e32 vcc, 0, v[8:9]
                                        ; implicit-def: $vgpr14_vgpr15
	s_and_saveexec_b64 s[0:1], vcc
	s_xor_b64 s[6:7], exec, s[0:1]
	s_cbranch_execz .LBB33_8
; %bb.7:
	s_ashr_i32 s8, s15, 31
	s_add_u32 s0, s14, s8
	s_mov_b32 s9, s8
	s_addc_u32 s1, s15, s8
	s_xor_b64 s[10:11], s[0:1], s[8:9]
	v_cvt_f32_u32_e32 v8, s10
	v_cvt_f32_u32_e32 v9, s11
	s_sub_u32 s0, 0, s10
	s_subb_u32 s1, 0, s11
	v_madmk_f32 v8, v9, 0x4f800000, v8
	v_rcp_f32_e32 v8, v8
	v_mul_f32_e32 v8, 0x5f7ffffc, v8
	v_mul_f32_e32 v9, 0x2f800000, v8
	v_trunc_f32_e32 v9, v9
	v_madmk_f32 v8, v9, 0xcf800000, v8
	v_cvt_u32_f32_e32 v9, v9
	v_cvt_u32_f32_e32 v8, v8
	v_mul_lo_u32 v10, s0, v9
	v_mul_hi_u32 v12, s0, v8
	v_mul_lo_u32 v11, s1, v8
	v_add_u32_e32 v10, v12, v10
	v_mul_lo_u32 v13, s0, v8
	v_add_u32_e32 v10, v10, v11
	v_mul_lo_u32 v12, v8, v10
	v_mul_hi_u32 v14, v8, v13
	v_mul_hi_u32 v11, v8, v10
	v_add_co_u32_e32 v12, vcc, v14, v12
	v_addc_co_u32_e32 v11, vcc, 0, v11, vcc
	v_mul_hi_u32 v15, v9, v13
	v_mul_lo_u32 v13, v9, v13
	v_add_co_u32_e32 v12, vcc, v12, v13
	v_mul_hi_u32 v14, v9, v10
	v_addc_co_u32_e32 v11, vcc, v11, v15, vcc
	v_addc_co_u32_e32 v12, vcc, 0, v14, vcc
	v_mul_lo_u32 v10, v9, v10
	v_add_co_u32_e32 v10, vcc, v11, v10
	v_addc_co_u32_e32 v11, vcc, 0, v12, vcc
	v_add_co_u32_e32 v8, vcc, v8, v10
	v_addc_co_u32_e32 v9, vcc, v9, v11, vcc
	v_mul_lo_u32 v10, s0, v9
	v_mul_hi_u32 v11, s0, v8
	v_add_u32_e32 v10, v11, v10
	v_mul_lo_u32 v11, s1, v8
	v_add_u32_e32 v10, v10, v11
	v_mul_lo_u32 v12, s0, v8
	v_mul_hi_u32 v13, v9, v12
	v_mul_lo_u32 v14, v9, v12
	v_mul_lo_u32 v16, v8, v10
	v_mul_hi_u32 v12, v8, v12
	v_mul_hi_u32 v15, v8, v10
	v_add_co_u32_e32 v12, vcc, v12, v16
	v_addc_co_u32_e32 v15, vcc, 0, v15, vcc
	v_add_co_u32_e32 v12, vcc, v12, v14
	v_mul_hi_u32 v11, v9, v10
	v_addc_co_u32_e32 v12, vcc, v15, v13, vcc
	v_addc_co_u32_e32 v11, vcc, 0, v11, vcc
	v_mul_lo_u32 v10, v9, v10
	v_add_co_u32_e32 v10, vcc, v12, v10
	v_addc_co_u32_e32 v11, vcc, 0, v11, vcc
	v_add_co_u32_e32 v10, vcc, v8, v10
	v_addc_co_u32_e32 v11, vcc, v9, v11, vcc
	v_ashrrev_i32_e32 v12, 31, v7
	v_add_co_u32_e32 v8, vcc, v5, v12
	v_addc_co_u32_e32 v9, vcc, v7, v12, vcc
	v_xor_b32_e32 v14, v8, v12
	v_xor_b32_e32 v13, v9, v12
	v_mad_u64_u32 v[8:9], s[0:1], v14, v11, 0
	v_mul_hi_u32 v15, v14, v10
	v_add_co_u32_e32 v15, vcc, v15, v8
	v_addc_co_u32_e32 v16, vcc, 0, v9, vcc
	v_mad_u64_u32 v[8:9], s[0:1], v13, v11, 0
	v_mad_u64_u32 v[10:11], s[0:1], v13, v10, 0
	v_add_co_u32_e32 v10, vcc, v15, v10
	v_addc_co_u32_e32 v10, vcc, v16, v11, vcc
	v_addc_co_u32_e32 v9, vcc, 0, v9, vcc
	v_add_co_u32_e32 v10, vcc, v10, v8
	v_addc_co_u32_e32 v11, vcc, 0, v9, vcc
	v_mul_lo_u32 v15, s11, v10
	v_mul_lo_u32 v16, s10, v11
	v_mad_u64_u32 v[8:9], s[0:1], s10, v10, 0
	v_add3_u32 v9, v9, v16, v15
	v_sub_u32_e32 v15, v13, v9
	v_mov_b32_e32 v16, s11
	v_sub_co_u32_e32 v8, vcc, v14, v8
	v_subb_co_u32_e64 v14, s[0:1], v15, v16, vcc
	v_subrev_co_u32_e64 v15, s[0:1], s10, v8
	v_subbrev_co_u32_e64 v14, s[0:1], 0, v14, s[0:1]
	v_cmp_le_u32_e64 s[0:1], s11, v14
	v_cndmask_b32_e64 v16, 0, -1, s[0:1]
	v_cmp_le_u32_e64 s[0:1], s10, v15
	v_cndmask_b32_e64 v15, 0, -1, s[0:1]
	v_cmp_eq_u32_e64 s[0:1], s11, v14
	v_cndmask_b32_e64 v14, v16, v15, s[0:1]
	v_add_co_u32_e64 v15, s[0:1], 2, v10
	v_subb_co_u32_e32 v9, vcc, v13, v9, vcc
	v_addc_co_u32_e64 v16, s[0:1], 0, v11, s[0:1]
	v_cmp_le_u32_e32 vcc, s11, v9
	v_add_co_u32_e64 v17, s[0:1], 1, v10
	v_cndmask_b32_e64 v13, 0, -1, vcc
	v_cmp_le_u32_e32 vcc, s10, v8
	v_addc_co_u32_e64 v18, s[0:1], 0, v11, s[0:1]
	v_cndmask_b32_e64 v8, 0, -1, vcc
	v_cmp_eq_u32_e32 vcc, s11, v9
	v_cmp_ne_u32_e64 s[0:1], 0, v14
	v_cndmask_b32_e32 v8, v13, v8, vcc
	v_cmp_ne_u32_e32 vcc, 0, v8
	v_cndmask_b32_e64 v9, v17, v15, s[0:1]
	v_cndmask_b32_e64 v14, v18, v16, s[0:1]
	v_cndmask_b32_e32 v9, v10, v9, vcc
	v_xor_b32_e32 v10, s8, v12
	v_cndmask_b32_e32 v8, v11, v14, vcc
	v_xor_b32_e32 v9, v9, v10
	v_xor_b32_e32 v8, v8, v10
	v_sub_co_u32_e32 v14, vcc, v9, v10
	v_subb_co_u32_e32 v15, vcc, v8, v10, vcc
.LBB33_8:
	s_or_saveexec_b64 s[0:1], s[6:7]
	s_load_dword s2, s[2:3], 0x0
	s_xor_b64 exec, exec, s[0:1]
	s_cbranch_execz .LBB33_10
; %bb.9:
	v_cvt_f32_u32_e32 v8, s14
	s_sub_i32 s3, 0, s14
	v_mov_b32_e32 v15, 0
	v_rcp_iflag_f32_e32 v8, v8
	v_mul_f32_e32 v8, 0x4f7ffffe, v8
	v_cvt_u32_f32_e32 v8, v8
	v_mul_lo_u32 v9, s3, v8
	v_mul_hi_u32 v9, v8, v9
	v_add_u32_e32 v8, v8, v9
	v_mul_hi_u32 v8, v5, v8
	v_mul_lo_u32 v9, v8, s14
	v_sub_u32_e32 v9, v5, v9
	v_add_u32_e32 v10, 1, v8
	v_subrev_u32_e32 v11, s14, v9
	v_cmp_le_u32_e32 vcc, s14, v9
	v_cndmask_b32_e32 v9, v9, v11, vcc
	v_cndmask_b32_e32 v8, v8, v10, vcc
	v_add_u32_e32 v10, 1, v8
	v_cmp_le_u32_e32 vcc, s14, v9
	v_cndmask_b32_e32 v14, v8, v10, vcc
.LBB33_10:
	s_or_b64 exec, exec, s[0:1]
	s_load_dwordx8 s[36:43], s[4:5], 0x0
	s_load_dwordx2 s[0:1], s[4:5], 0x20
	v_lshlrev_b64 v[8:9], 3, v[2:3]
	v_ashrrev_i32_e32 v20, 31, v4
	v_mul_lo_u32 v12, v4, s23
	s_waitcnt lgkmcnt(0)
	v_mov_b32_e32 v3, s39
	v_add_co_u32_e32 v2, vcc, s38, v8
	v_addc_co_u32_e32 v3, vcc, v3, v9, vcc
	v_mov_b32_e32 v10, s1
	v_add_co_u32_e32 v8, vcc, s0, v8
	v_addc_co_u32_e32 v9, vcc, v10, v9, vcc
	global_load_dwordx2 v[8:9], v[8:9], off
	v_mul_lo_u32 v13, v20, s22
	global_load_dwordx2 v[2:3], v[2:3], off
	v_mad_u64_u32 v[10:11], s[0:1], v4, s22, 0
	v_add3_u32 v11, v11, v12, v13
	v_lshlrev_b64 v[10:11], 3, v[10:11]
	v_mov_b32_e32 v12, s41
	v_add_co_u32_e32 v13, vcc, s40, v10
	v_addc_co_u32_e32 v12, vcc, v12, v11, vcc
	v_mul_lo_u32 v16, v15, s16
	v_mul_lo_u32 v17, v14, s17
	v_mad_u64_u32 v[10:11], s[0:1], v14, s16, 0
	v_add3_u32 v11, v11, v17, v16
	v_lshlrev_b64 v[10:11], 3, v[10:11]
	v_add_co_u32_e32 v16, vcc, v13, v10
	v_addc_co_u32_e32 v17, vcc, v12, v11, vcc
	s_lshl_b64 s[0:1], s[16:17], 3
	v_mov_b32_e32 v11, s1
	v_add_co_u32_e32 v10, vcc, s0, v16
	v_addc_co_u32_e32 v11, vcc, v17, v11, vcc
	v_lshlrev_b64 v[0:1], 3, v[0:1]
	v_add_co_u32_e32 v12, vcc, v16, v0
	v_mul_lo_u32 v19, s16, v6
	v_mov_b32_e32 v18, 0
	v_addc_co_u32_e32 v13, vcc, v17, v1, vcc
	v_ashrrev_i64 v[18:19], 29, v[18:19]
	v_mov_b32_e32 v6, s37
	v_add_co_u32_e32 v21, vcc, s36, v18
	v_addc_co_u32_e32 v22, vcc, v6, v19, vcc
	v_mul_lo_u32 v6, v15, s14
	v_mul_lo_u32 v23, v14, s15
	v_mad_u64_u32 v[18:19], s[0:1], v14, s14, 0
	v_add3_u32 v6, v19, v23, v6
	v_sub_co_u32_e32 v18, vcc, v5, v18
	v_subb_co_u32_e32 v19, vcc, v7, v6, vcc
	v_mul_lo_u32 v5, v18, s13
	v_mul_lo_u32 v23, v19, s12
	v_mad_u64_u32 v[6:7], s[0:1], v18, s12, v[14:15]
	v_add3_u32 v5, v23, v7, v5
	v_mul_lo_u32 v5, v5, s16
	v_mul_lo_u32 v14, v6, s17
	v_mad_u64_u32 v[6:7], s[0:1], v6, s16, 0
	v_add3_u32 v7, v7, v14, v5
	v_lshlrev_b64 v[6:7], 3, v[6:7]
	v_mul_lo_u32 v14, v4, s25
	v_mul_lo_u32 v15, v20, s24
	v_mad_u64_u32 v[4:5], s[0:1], v4, s24, 0
	v_add_co_u32_e32 v6, vcc, v21, v6
	v_add3_u32 v5, v5, v14, v15
	v_addc_co_u32_e32 v7, vcc, v22, v7, vcc
	v_lshlrev_b64 v[4:5], 3, v[4:5]
	v_mov_b32_e32 v14, s43
	v_add_co_u32_e32 v15, vcc, s42, v4
	v_addc_co_u32_e32 v20, vcc, v14, v5, vcc
	v_mul_lo_u32 v14, v19, s16
	v_mul_lo_u32 v19, v18, s17
	v_mad_u64_u32 v[4:5], s[0:1], v18, s16, 0
	v_add3_u32 v5, v5, v19, v14
	v_lshlrev_b64 v[4:5], 3, v[4:5]
	s_mul_i32 s4, s2, s18
	v_add_co_u32_e32 v14, vcc, v15, v4
	s_ashr_i32 s5, s4, 31
	v_addc_co_u32_e32 v15, vcc, v20, v5, vcc
	s_mov_b64 s[2:3], 0
	s_waitcnt vmcnt(1)
	v_cmp_neq_f64_e64 s[0:1], 0, v[8:9]
	s_lshl_b64 s[4:5], s[4:5], 3
	s_branch .LBB33_12
.LBB33_11:                              ;   in Loop: Header=BB33_12 Depth=1
	s_or_b64 exec, exec, s[6:7]
	v_add_co_u32_e32 v18, vcc, v6, v0
	v_addc_co_u32_e32 v19, vcc, v7, v1, vcc
	global_store_dwordx2 v[18:19], v[4:5], off
	v_mov_b32_e32 v4, s5
	v_add_co_u32_e32 v12, vcc, s4, v12
	v_addc_co_u32_e32 v13, vcc, v13, v4, vcc
	v_cmp_ge_u64_e32 vcc, v[12:13], v[10:11]
	s_or_b64 s[2:3], vcc, s[2:3]
	v_add_co_u32_e32 v0, vcc, s4, v0
	v_addc_co_u32_e32 v1, vcc, v1, v4, vcc
	s_andn2_b64 exec, exec, s[2:3]
	s_cbranch_execz .LBB33_14
.LBB33_12:                              ; =>This Inner Loop Header: Depth=1
	v_pk_mov_b32 v[4:5], 0, 0
	s_and_saveexec_b64 s[6:7], s[0:1]
	s_cbranch_execz .LBB33_11
; %bb.13:                               ;   in Loop: Header=BB33_12 Depth=1
	v_add_co_u32_e32 v4, vcc, v14, v0
	v_addc_co_u32_e32 v5, vcc, v15, v1, vcc
	v_add_co_u32_e32 v18, vcc, v16, v0
	v_addc_co_u32_e32 v19, vcc, v17, v1, vcc
	global_load_dwordx2 v[20:21], v[18:19], off
	global_load_dwordx2 v[22:23], v[4:5], off
	s_waitcnt vmcnt(0)
	v_add_f64 v[4:5], v[20:21], -v[22:23]
	v_mul_f64 v[4:5], v[2:3], v[4:5]
	v_div_scale_f64 v[18:19], s[8:9], v[8:9], v[8:9], v[4:5]
	v_rcp_f64_e32 v[20:21], v[18:19]
	v_div_scale_f64 v[22:23], vcc, v[4:5], v[8:9], v[4:5]
	v_fma_f64 v[24:25], -v[18:19], v[20:21], 1.0
	v_fmac_f64_e32 v[20:21], v[20:21], v[24:25]
	v_fma_f64 v[24:25], -v[18:19], v[20:21], 1.0
	v_fmac_f64_e32 v[20:21], v[20:21], v[24:25]
	v_mul_f64 v[24:25], v[22:23], v[20:21]
	v_fma_f64 v[18:19], -v[18:19], v[24:25], v[22:23]
	v_div_fmas_f64 v[18:19], v[18:19], v[20:21], v[24:25]
	v_div_fixup_f64 v[4:5], v[18:19], v[8:9], v[4:5]
	s_branch .LBB33_11
.LBB33_14:
	s_endpgm
	.section	.rodata,"a",@progbits
	.p2align	6, 0x0
	.amdhsa_kernel _ZN2at6native12_GLOBAL__N_131cdist_backward_kernel_cuda_implIdNS1_5distsIdE3twoEEEvPT_PKS6_S9_S9_S9_S6_lllllll
		.amdhsa_group_segment_fixed_size 0
		.amdhsa_private_segment_fixed_size 0
		.amdhsa_kernarg_size 360
		.amdhsa_user_sgpr_count 6
		.amdhsa_user_sgpr_private_segment_buffer 1
		.amdhsa_user_sgpr_dispatch_ptr 0
		.amdhsa_user_sgpr_queue_ptr 0
		.amdhsa_user_sgpr_kernarg_segment_ptr 1
		.amdhsa_user_sgpr_dispatch_id 0
		.amdhsa_user_sgpr_flat_scratch_init 0
		.amdhsa_user_sgpr_kernarg_preload_length 0
		.amdhsa_user_sgpr_kernarg_preload_offset 0
		.amdhsa_user_sgpr_private_segment_size 0
		.amdhsa_uses_dynamic_stack 0
		.amdhsa_system_sgpr_private_segment_wavefront_offset 0
		.amdhsa_system_sgpr_workgroup_id_x 1
		.amdhsa_system_sgpr_workgroup_id_y 1
		.amdhsa_system_sgpr_workgroup_id_z 1
		.amdhsa_system_sgpr_workgroup_info 0
		.amdhsa_system_vgpr_workitem_id 1
		.amdhsa_next_free_vgpr 26
		.amdhsa_next_free_sgpr 44
		.amdhsa_accum_offset 28
		.amdhsa_reserve_vcc 1
		.amdhsa_reserve_flat_scratch 0
		.amdhsa_float_round_mode_32 0
		.amdhsa_float_round_mode_16_64 0
		.amdhsa_float_denorm_mode_32 3
		.amdhsa_float_denorm_mode_16_64 3
		.amdhsa_dx10_clamp 1
		.amdhsa_ieee_mode 1
		.amdhsa_fp16_overflow 0
		.amdhsa_tg_split 0
		.amdhsa_exception_fp_ieee_invalid_op 0
		.amdhsa_exception_fp_denorm_src 0
		.amdhsa_exception_fp_ieee_div_zero 0
		.amdhsa_exception_fp_ieee_overflow 0
		.amdhsa_exception_fp_ieee_underflow 0
		.amdhsa_exception_fp_ieee_inexact 0
		.amdhsa_exception_int_div_zero 0
	.end_amdhsa_kernel
	.section	.text._ZN2at6native12_GLOBAL__N_131cdist_backward_kernel_cuda_implIdNS1_5distsIdE3twoEEEvPT_PKS6_S9_S9_S9_S6_lllllll,"axG",@progbits,_ZN2at6native12_GLOBAL__N_131cdist_backward_kernel_cuda_implIdNS1_5distsIdE3twoEEEvPT_PKS6_S9_S9_S9_S6_lllllll,comdat
.Lfunc_end33:
	.size	_ZN2at6native12_GLOBAL__N_131cdist_backward_kernel_cuda_implIdNS1_5distsIdE3twoEEEvPT_PKS6_S9_S9_S9_S6_lllllll, .Lfunc_end33-_ZN2at6native12_GLOBAL__N_131cdist_backward_kernel_cuda_implIdNS1_5distsIdE3twoEEEvPT_PKS6_S9_S9_S9_S6_lllllll
                                        ; -- End function
	.section	.AMDGPU.csdata,"",@progbits
; Kernel info:
; codeLenInByte = 2500
; NumSgprs: 48
; NumVgprs: 26
; NumAgprs: 0
; TotalNumVgprs: 26
; ScratchSize: 0
; MemoryBound: 0
; FloatMode: 240
; IeeeMode: 1
; LDSByteSize: 0 bytes/workgroup (compile time only)
; SGPRBlocks: 5
; VGPRBlocks: 3
; NumSGPRsForWavesPerEU: 48
; NumVGPRsForWavesPerEU: 26
; AccumOffset: 28
; Occupancy: 8
; WaveLimiterHint : 0
; COMPUTE_PGM_RSRC2:SCRATCH_EN: 0
; COMPUTE_PGM_RSRC2:USER_SGPR: 6
; COMPUTE_PGM_RSRC2:TRAP_HANDLER: 0
; COMPUTE_PGM_RSRC2:TGID_X_EN: 1
; COMPUTE_PGM_RSRC2:TGID_Y_EN: 1
; COMPUTE_PGM_RSRC2:TGID_Z_EN: 1
; COMPUTE_PGM_RSRC2:TIDIG_COMP_CNT: 1
; COMPUTE_PGM_RSRC3_GFX90A:ACCUM_OFFSET: 6
; COMPUTE_PGM_RSRC3_GFX90A:TG_SPLIT: 0
	.section	.text._ZN2at6native12_GLOBAL__N_131cdist_backward_kernel_cuda_implIdNS1_5distsIdE3infEEEvPT_PKS6_S9_S9_S9_S6_lllllll,"axG",@progbits,_ZN2at6native12_GLOBAL__N_131cdist_backward_kernel_cuda_implIdNS1_5distsIdE3infEEEvPT_PKS6_S9_S9_S9_S6_lllllll,comdat
	.globl	_ZN2at6native12_GLOBAL__N_131cdist_backward_kernel_cuda_implIdNS1_5distsIdE3infEEEvPT_PKS6_S9_S9_S9_S6_lllllll ; -- Begin function _ZN2at6native12_GLOBAL__N_131cdist_backward_kernel_cuda_implIdNS1_5distsIdE3infEEEvPT_PKS6_S9_S9_S9_S6_lllllll
	.p2align	8
	.type	_ZN2at6native12_GLOBAL__N_131cdist_backward_kernel_cuda_implIdNS1_5distsIdE3infEEEvPT_PKS6_S9_S9_S9_S6_lllllll,@function
_ZN2at6native12_GLOBAL__N_131cdist_backward_kernel_cuda_implIdNS1_5distsIdE3infEEEvPT_PKS6_S9_S9_S9_S6_lllllll: ; @_ZN2at6native12_GLOBAL__N_131cdist_backward_kernel_cuda_implIdNS1_5distsIdE3infEEEvPT_PKS6_S9_S9_S9_S6_lllllll
; %bb.0:
	s_load_dwordx2 s[0:1], s[4:5], 0x70
	s_load_dwordx8 s[12:19], s[4:5], 0x30
	s_add_u32 s2, s4, 0x68
	s_addc_u32 s3, s5, 0
	v_bfe_u32 v1, v0, 10, 10
	s_waitcnt lgkmcnt(0)
	s_mul_i32 s0, s0, s7
	s_add_i32 s0, s0, s8
	s_lshr_b32 s7, s1, 16
	s_mul_i32 s0, s0, s7
	v_add_u32_e32 v2, s0, v1
	v_ashrrev_i32_e32 v3, 31, v2
	v_cmp_gt_i64_e32 vcc, s[18:19], v[2:3]
	s_and_saveexec_b64 s[8:9], vcc
	s_cbranch_execz .LBB34_12
; %bb.1:
	s_load_dwordx8 s[20:27], s[4:5], 0x50
	s_and_b32 s18, s1, 0xffff
	s_mul_i32 s6, s6, s18
	v_and_b32_e32 v0, 0x3ff, v0
	v_add_u32_e32 v0, s6, v0
	v_ashrrev_i32_e32 v1, 31, v0
	v_cmp_gt_i64_e32 vcc, s[16:17], v[0:1]
	s_and_b64 exec, exec, vcc
	s_cbranch_execz .LBB34_12
; %bb.2:
	s_waitcnt lgkmcnt(0)
	v_or_b32_e32 v5, s21, v3
	v_mov_b32_e32 v4, 0
	v_cmp_ne_u64_e32 vcc, 0, v[4:5]
                                        ; implicit-def: $vgpr4_vgpr5
	s_and_saveexec_b64 s[0:1], vcc
	s_xor_b64 s[6:7], exec, s[0:1]
	s_cbranch_execz .LBB34_4
; %bb.3:
	s_ashr_i32 s8, s21, 31
	s_add_u32 s0, s20, s8
	s_mov_b32 s9, s8
	s_addc_u32 s1, s21, s8
	s_xor_b64 s[10:11], s[0:1], s[8:9]
	v_cvt_f32_u32_e32 v4, s10
	v_cvt_f32_u32_e32 v5, s11
	s_sub_u32 s0, 0, s10
	s_subb_u32 s1, 0, s11
	v_madmk_f32 v4, v5, 0x4f800000, v4
	v_rcp_f32_e32 v4, v4
	v_mul_f32_e32 v4, 0x5f7ffffc, v4
	v_mul_f32_e32 v5, 0x2f800000, v4
	v_trunc_f32_e32 v5, v5
	v_madmk_f32 v4, v5, 0xcf800000, v4
	v_cvt_u32_f32_e32 v5, v5
	v_cvt_u32_f32_e32 v4, v4
	v_mul_lo_u32 v6, s0, v5
	v_mul_hi_u32 v8, s0, v4
	v_mul_lo_u32 v7, s1, v4
	v_add_u32_e32 v6, v8, v6
	v_mul_lo_u32 v9, s0, v4
	v_add_u32_e32 v6, v6, v7
	v_mul_lo_u32 v8, v4, v6
	v_mul_hi_u32 v10, v4, v9
	v_mul_hi_u32 v7, v4, v6
	v_add_co_u32_e32 v8, vcc, v10, v8
	v_addc_co_u32_e32 v7, vcc, 0, v7, vcc
	v_mul_hi_u32 v11, v5, v9
	v_mul_lo_u32 v9, v5, v9
	v_add_co_u32_e32 v8, vcc, v8, v9
	v_mul_hi_u32 v10, v5, v6
	v_addc_co_u32_e32 v7, vcc, v7, v11, vcc
	v_addc_co_u32_e32 v8, vcc, 0, v10, vcc
	v_mul_lo_u32 v6, v5, v6
	v_add_co_u32_e32 v6, vcc, v7, v6
	v_addc_co_u32_e32 v7, vcc, 0, v8, vcc
	v_add_co_u32_e32 v4, vcc, v4, v6
	v_addc_co_u32_e32 v5, vcc, v5, v7, vcc
	v_mul_lo_u32 v6, s0, v5
	v_mul_hi_u32 v7, s0, v4
	v_add_u32_e32 v6, v7, v6
	v_mul_lo_u32 v7, s1, v4
	v_add_u32_e32 v6, v6, v7
	v_mul_lo_u32 v8, s0, v4
	v_mul_hi_u32 v9, v5, v8
	v_mul_lo_u32 v10, v5, v8
	v_mul_lo_u32 v12, v4, v6
	v_mul_hi_u32 v8, v4, v8
	v_mul_hi_u32 v11, v4, v6
	v_add_co_u32_e32 v8, vcc, v8, v12
	v_addc_co_u32_e32 v11, vcc, 0, v11, vcc
	v_add_co_u32_e32 v8, vcc, v8, v10
	v_mul_hi_u32 v7, v5, v6
	v_addc_co_u32_e32 v8, vcc, v11, v9, vcc
	v_addc_co_u32_e32 v7, vcc, 0, v7, vcc
	v_mul_lo_u32 v6, v5, v6
	v_add_co_u32_e32 v6, vcc, v8, v6
	v_addc_co_u32_e32 v7, vcc, 0, v7, vcc
	v_add_co_u32_e32 v6, vcc, v4, v6
	v_addc_co_u32_e32 v7, vcc, v5, v7, vcc
	v_ashrrev_i32_e32 v8, 31, v3
	v_add_co_u32_e32 v4, vcc, v2, v8
	v_addc_co_u32_e32 v5, vcc, v3, v8, vcc
	v_xor_b32_e32 v10, v4, v8
	v_xor_b32_e32 v9, v5, v8
	v_mad_u64_u32 v[4:5], s[0:1], v10, v7, 0
	v_mul_hi_u32 v11, v10, v6
	v_add_co_u32_e32 v11, vcc, v11, v4
	v_addc_co_u32_e32 v12, vcc, 0, v5, vcc
	v_mad_u64_u32 v[4:5], s[0:1], v9, v7, 0
	v_mad_u64_u32 v[6:7], s[0:1], v9, v6, 0
	v_add_co_u32_e32 v6, vcc, v11, v6
	v_addc_co_u32_e32 v6, vcc, v12, v7, vcc
	v_addc_co_u32_e32 v5, vcc, 0, v5, vcc
	v_add_co_u32_e32 v6, vcc, v6, v4
	v_addc_co_u32_e32 v7, vcc, 0, v5, vcc
	v_mul_lo_u32 v11, s11, v6
	v_mul_lo_u32 v12, s10, v7
	v_mad_u64_u32 v[4:5], s[0:1], s10, v6, 0
	v_add3_u32 v5, v5, v12, v11
	v_sub_u32_e32 v11, v9, v5
	v_mov_b32_e32 v12, s11
	v_sub_co_u32_e32 v4, vcc, v10, v4
	v_subb_co_u32_e64 v10, s[0:1], v11, v12, vcc
	v_subrev_co_u32_e64 v11, s[0:1], s10, v4
	v_subbrev_co_u32_e64 v10, s[0:1], 0, v10, s[0:1]
	v_cmp_le_u32_e64 s[0:1], s11, v10
	v_cndmask_b32_e64 v12, 0, -1, s[0:1]
	v_cmp_le_u32_e64 s[0:1], s10, v11
	v_cndmask_b32_e64 v11, 0, -1, s[0:1]
	v_cmp_eq_u32_e64 s[0:1], s11, v10
	v_cndmask_b32_e64 v10, v12, v11, s[0:1]
	v_add_co_u32_e64 v11, s[0:1], 2, v6
	v_subb_co_u32_e32 v5, vcc, v9, v5, vcc
	v_addc_co_u32_e64 v12, s[0:1], 0, v7, s[0:1]
	v_cmp_le_u32_e32 vcc, s11, v5
	v_add_co_u32_e64 v13, s[0:1], 1, v6
	v_cndmask_b32_e64 v9, 0, -1, vcc
	v_cmp_le_u32_e32 vcc, s10, v4
	v_addc_co_u32_e64 v14, s[0:1], 0, v7, s[0:1]
	v_cndmask_b32_e64 v4, 0, -1, vcc
	v_cmp_eq_u32_e32 vcc, s11, v5
	v_cmp_ne_u32_e64 s[0:1], 0, v10
	v_cndmask_b32_e32 v4, v9, v4, vcc
	v_cndmask_b32_e64 v10, v14, v12, s[0:1]
	v_cmp_ne_u32_e32 vcc, 0, v4
	v_cndmask_b32_e64 v5, v13, v11, s[0:1]
	v_cndmask_b32_e32 v4, v7, v10, vcc
	v_cndmask_b32_e32 v5, v6, v5, vcc
	v_xor_b32_e32 v6, s8, v8
	v_xor_b32_e32 v7, v4, v6
	;; [unrolled: 1-line block ×3, first 2 shown]
	v_sub_co_u32_e32 v4, vcc, v4, v6
	v_subb_co_u32_e32 v5, vcc, v7, v6, vcc
.LBB34_4:
	s_andn2_saveexec_b64 s[0:1], s[6:7]
	s_cbranch_execz .LBB34_6
; %bb.5:
	v_cvt_f32_u32_e32 v4, s20
	s_sub_i32 s6, 0, s20
	v_rcp_iflag_f32_e32 v4, v4
	v_mul_f32_e32 v4, 0x4f7ffffe, v4
	v_cvt_u32_f32_e32 v4, v4
	v_mul_lo_u32 v5, s6, v4
	v_mul_hi_u32 v5, v4, v5
	v_add_u32_e32 v4, v4, v5
	v_mul_hi_u32 v4, v2, v4
	v_mul_lo_u32 v5, v4, s20
	v_sub_u32_e32 v5, v2, v5
	v_add_u32_e32 v6, 1, v4
	v_subrev_u32_e32 v7, s20, v5
	v_cmp_le_u32_e32 vcc, s20, v5
	v_cndmask_b32_e32 v5, v5, v7, vcc
	v_cndmask_b32_e32 v4, v4, v6, vcc
	v_add_u32_e32 v6, 1, v4
	v_cmp_le_u32_e32 vcc, s20, v5
	v_cndmask_b32_e32 v4, v4, v6, vcc
	v_mov_b32_e32 v5, 0
.LBB34_6:
	s_or_b64 exec, exec, s[0:1]
	v_mul_lo_u32 v5, v5, s20
	v_mul_lo_u32 v8, v4, s21
	v_mad_u64_u32 v[6:7], s[0:1], v4, s20, 0
	v_add3_u32 v7, v7, v8, v5
	v_sub_co_u32_e32 v5, vcc, v2, v6
	v_subb_co_u32_e32 v16, vcc, v3, v7, vcc
	v_or_b32_e32 v9, s15, v16
	v_mov_b32_e32 v8, 0
	v_cmp_ne_u64_e32 vcc, 0, v[8:9]
                                        ; implicit-def: $vgpr14_vgpr15
	s_and_saveexec_b64 s[0:1], vcc
	s_xor_b64 s[6:7], exec, s[0:1]
	s_cbranch_execz .LBB34_8
; %bb.7:
	s_ashr_i32 s8, s15, 31
	s_add_u32 s0, s14, s8
	s_mov_b32 s9, s8
	s_addc_u32 s1, s15, s8
	s_xor_b64 s[10:11], s[0:1], s[8:9]
	v_cvt_f32_u32_e32 v7, s10
	v_cvt_f32_u32_e32 v8, s11
	s_sub_u32 s0, 0, s10
	s_subb_u32 s1, 0, s11
	v_madmk_f32 v7, v8, 0x4f800000, v7
	v_rcp_f32_e32 v7, v7
	v_mul_f32_e32 v7, 0x5f7ffffc, v7
	v_mul_f32_e32 v8, 0x2f800000, v7
	v_trunc_f32_e32 v8, v8
	v_madmk_f32 v7, v8, 0xcf800000, v7
	v_cvt_u32_f32_e32 v8, v8
	v_cvt_u32_f32_e32 v7, v7
	v_mul_lo_u32 v9, s0, v8
	v_mul_hi_u32 v11, s0, v7
	v_mul_lo_u32 v10, s1, v7
	v_add_u32_e32 v9, v11, v9
	v_mul_lo_u32 v12, s0, v7
	v_add_u32_e32 v9, v9, v10
	v_mul_lo_u32 v11, v7, v9
	v_mul_hi_u32 v13, v7, v12
	v_mul_hi_u32 v10, v7, v9
	v_add_co_u32_e32 v11, vcc, v13, v11
	v_addc_co_u32_e32 v10, vcc, 0, v10, vcc
	v_mul_hi_u32 v14, v8, v12
	v_mul_lo_u32 v12, v8, v12
	v_add_co_u32_e32 v11, vcc, v11, v12
	v_mul_hi_u32 v13, v8, v9
	v_addc_co_u32_e32 v10, vcc, v10, v14, vcc
	v_addc_co_u32_e32 v11, vcc, 0, v13, vcc
	v_mul_lo_u32 v9, v8, v9
	v_add_co_u32_e32 v9, vcc, v10, v9
	v_addc_co_u32_e32 v10, vcc, 0, v11, vcc
	v_add_co_u32_e32 v7, vcc, v7, v9
	v_addc_co_u32_e32 v8, vcc, v8, v10, vcc
	v_mul_lo_u32 v9, s0, v8
	v_mul_hi_u32 v10, s0, v7
	v_add_u32_e32 v9, v10, v9
	v_mul_lo_u32 v10, s1, v7
	v_add_u32_e32 v9, v9, v10
	v_mul_lo_u32 v11, s0, v7
	v_mul_hi_u32 v12, v8, v11
	v_mul_lo_u32 v13, v8, v11
	v_mul_lo_u32 v15, v7, v9
	v_mul_hi_u32 v11, v7, v11
	v_mul_hi_u32 v14, v7, v9
	v_add_co_u32_e32 v11, vcc, v11, v15
	v_addc_co_u32_e32 v14, vcc, 0, v14, vcc
	v_add_co_u32_e32 v11, vcc, v11, v13
	v_mul_hi_u32 v10, v8, v9
	v_addc_co_u32_e32 v11, vcc, v14, v12, vcc
	v_addc_co_u32_e32 v10, vcc, 0, v10, vcc
	v_mul_lo_u32 v9, v8, v9
	v_add_co_u32_e32 v9, vcc, v11, v9
	v_addc_co_u32_e32 v10, vcc, 0, v10, vcc
	v_add_co_u32_e32 v7, vcc, v7, v9
	v_addc_co_u32_e32 v10, vcc, v8, v10, vcc
	v_ashrrev_i32_e32 v12, 31, v16
	v_add_co_u32_e32 v8, vcc, v5, v12
	v_addc_co_u32_e32 v9, vcc, v16, v12, vcc
	v_xor_b32_e32 v14, v8, v12
	v_xor_b32_e32 v13, v9, v12
	v_mad_u64_u32 v[8:9], s[0:1], v14, v10, 0
	v_mul_hi_u32 v11, v14, v7
	v_add_co_u32_e32 v15, vcc, v11, v8
	v_addc_co_u32_e32 v17, vcc, 0, v9, vcc
	v_mad_u64_u32 v[8:9], s[0:1], v13, v10, 0
	v_mad_u64_u32 v[10:11], s[0:1], v13, v7, 0
	v_add_co_u32_e32 v7, vcc, v15, v10
	v_addc_co_u32_e32 v7, vcc, v17, v11, vcc
	v_addc_co_u32_e32 v9, vcc, 0, v9, vcc
	v_add_co_u32_e32 v7, vcc, v7, v8
	v_addc_co_u32_e32 v10, vcc, 0, v9, vcc
	v_mul_lo_u32 v11, s11, v7
	v_mul_lo_u32 v15, s10, v10
	v_mad_u64_u32 v[8:9], s[0:1], s10, v7, 0
	v_add3_u32 v9, v9, v15, v11
	v_sub_u32_e32 v11, v13, v9
	v_mov_b32_e32 v15, s11
	v_sub_co_u32_e32 v8, vcc, v14, v8
	v_subb_co_u32_e64 v11, s[0:1], v11, v15, vcc
	v_subrev_co_u32_e64 v14, s[0:1], s10, v8
	v_subbrev_co_u32_e64 v11, s[0:1], 0, v11, s[0:1]
	v_cmp_le_u32_e64 s[0:1], s11, v11
	v_cndmask_b32_e64 v15, 0, -1, s[0:1]
	v_cmp_le_u32_e64 s[0:1], s10, v14
	v_cndmask_b32_e64 v14, 0, -1, s[0:1]
	v_cmp_eq_u32_e64 s[0:1], s11, v11
	v_cndmask_b32_e64 v11, v15, v14, s[0:1]
	v_add_co_u32_e64 v14, s[0:1], 2, v7
	v_subb_co_u32_e32 v9, vcc, v13, v9, vcc
	v_addc_co_u32_e64 v15, s[0:1], 0, v10, s[0:1]
	v_cmp_le_u32_e32 vcc, s11, v9
	v_add_co_u32_e64 v17, s[0:1], 1, v7
	v_cndmask_b32_e64 v13, 0, -1, vcc
	v_cmp_le_u32_e32 vcc, s10, v8
	v_addc_co_u32_e64 v18, s[0:1], 0, v10, s[0:1]
	v_cndmask_b32_e64 v8, 0, -1, vcc
	v_cmp_eq_u32_e32 vcc, s11, v9
	v_cmp_ne_u32_e64 s[0:1], 0, v11
	v_cndmask_b32_e32 v8, v13, v8, vcc
	v_cmp_ne_u32_e32 vcc, 0, v8
	v_cndmask_b32_e64 v9, v17, v14, s[0:1]
	v_cndmask_b32_e64 v11, v18, v15, s[0:1]
	v_cndmask_b32_e32 v7, v7, v9, vcc
	v_xor_b32_e32 v9, s8, v12
	v_cndmask_b32_e32 v8, v10, v11, vcc
	v_xor_b32_e32 v7, v7, v9
	v_xor_b32_e32 v8, v8, v9
	v_sub_co_u32_e32 v14, vcc, v7, v9
	v_subb_co_u32_e32 v15, vcc, v8, v9, vcc
.LBB34_8:
	s_or_saveexec_b64 s[0:1], s[6:7]
	s_load_dword s2, s[2:3], 0x0
	s_xor_b64 exec, exec, s[0:1]
	s_cbranch_execz .LBB34_10
; %bb.9:
	v_cvt_f32_u32_e32 v7, s14
	s_sub_i32 s3, 0, s14
	v_mov_b32_e32 v15, 0
	v_rcp_iflag_f32_e32 v7, v7
	v_mul_f32_e32 v7, 0x4f7ffffe, v7
	v_cvt_u32_f32_e32 v7, v7
	v_mul_lo_u32 v8, s3, v7
	v_mul_hi_u32 v8, v7, v8
	v_add_u32_e32 v7, v7, v8
	v_mul_hi_u32 v7, v5, v7
	v_mul_lo_u32 v8, v7, s14
	v_sub_u32_e32 v8, v5, v8
	v_add_u32_e32 v9, 1, v7
	v_subrev_u32_e32 v10, s14, v8
	v_cmp_le_u32_e32 vcc, s14, v8
	v_cndmask_b32_e32 v8, v8, v10, vcc
	v_cndmask_b32_e32 v7, v7, v9, vcc
	v_add_u32_e32 v9, 1, v7
	v_cmp_le_u32_e32 vcc, s14, v8
	v_cndmask_b32_e32 v14, v7, v9, vcc
.LBB34_10:
	s_or_b64 exec, exec, s[0:1]
	s_load_dwordx8 s[36:43], s[4:5], 0x0
	s_load_dwordx2 s[0:1], s[4:5], 0x20
	v_lshlrev_b64 v[8:9], 3, v[2:3]
	v_ashrrev_i32_e32 v19, 31, v4
	v_mul_lo_u32 v12, v19, s22
	s_waitcnt lgkmcnt(0)
	v_mov_b32_e32 v3, s39
	v_add_co_u32_e32 v2, vcc, s38, v8
	v_addc_co_u32_e32 v3, vcc, v3, v9, vcc
	v_mov_b32_e32 v7, s1
	v_add_co_u32_e32 v8, vcc, s0, v8
	v_addc_co_u32_e32 v9, vcc, v7, v9, vcc
	global_load_dwordx2 v[2:3], v[2:3], off
	v_mul_lo_u32 v7, v4, s23
	global_load_dwordx2 v[8:9], v[8:9], off
	v_mad_u64_u32 v[10:11], s[0:1], v4, s22, 0
	v_add3_u32 v11, v11, v7, v12
	v_lshlrev_b64 v[10:11], 3, v[10:11]
	v_mov_b32_e32 v7, s41
	v_add_co_u32_e32 v12, vcc, s40, v10
	v_addc_co_u32_e32 v7, vcc, v7, v11, vcc
	v_mul_lo_u32 v13, v15, s16
	v_mul_lo_u32 v17, v14, s17
	v_mad_u64_u32 v[10:11], s[0:1], v14, s16, 0
	v_add3_u32 v11, v11, v17, v13
	v_lshlrev_b64 v[10:11], 3, v[10:11]
	v_add_co_u32_e32 v17, vcc, v12, v10
	v_addc_co_u32_e32 v18, vcc, v7, v11, vcc
	s_lshl_b64 s[0:1], s[16:17], 3
	v_mov_b32_e32 v7, s1
	v_add_co_u32_e32 v10, vcc, s0, v17
	v_addc_co_u32_e32 v11, vcc, v18, v7, vcc
	v_lshlrev_b64 v[0:1], 3, v[0:1]
	v_add_co_u32_e32 v12, vcc, v17, v0
	v_mul_lo_u32 v7, s16, v6
	v_mov_b32_e32 v6, 0
	v_addc_co_u32_e32 v13, vcc, v18, v1, vcc
	v_ashrrev_i64 v[20:21], 29, v[6:7]
	v_mov_b32_e32 v7, s37
	v_add_co_u32_e32 v22, vcc, s36, v20
	v_addc_co_u32_e32 v7, vcc, v7, v21, vcc
	v_mul_lo_u32 v23, v15, s14
	v_mul_lo_u32 v24, v14, s15
	v_mad_u64_u32 v[20:21], s[0:1], v14, s14, 0
	v_add3_u32 v21, v21, v24, v23
	v_sub_co_u32_e32 v23, vcc, v5, v20
	v_subb_co_u32_e32 v16, vcc, v16, v21, vcc
	v_mul_lo_u32 v5, v23, s13
	v_mul_lo_u32 v20, v16, s12
	v_mad_u64_u32 v[14:15], s[0:1], v23, s12, v[14:15]
	v_add3_u32 v5, v20, v15, v5
	v_mul_lo_u32 v5, v5, s16
	v_mul_lo_u32 v20, v14, s17
	v_mad_u64_u32 v[14:15], s[0:1], v14, s16, 0
	v_add3_u32 v15, v15, v20, v5
	v_lshlrev_b64 v[14:15], 3, v[14:15]
	v_add_co_u32_e32 v5, vcc, v22, v14
	v_addc_co_u32_e32 v14, vcc, v7, v15, vcc
	v_mul_lo_u32 v7, v4, s25
	v_mul_lo_u32 v15, v19, s24
	v_mad_u64_u32 v[20:21], s[0:1], v4, s24, 0
	v_add3_u32 v21, v21, v7, v15
	v_lshlrev_b64 v[20:21], 3, v[20:21]
	v_mov_b32_e32 v4, s43
	v_add_co_u32_e32 v7, vcc, s42, v20
	v_addc_co_u32_e32 v15, vcc, v4, v21, vcc
	v_mul_lo_u32 v4, v16, s16
	v_mul_lo_u32 v16, v23, s17
	v_mad_u64_u32 v[20:21], s[0:1], v23, s16, 0
	v_add3_u32 v21, v21, v16, v4
	v_lshlrev_b64 v[20:21], 3, v[20:21]
	s_mul_i32 s0, s2, s18
	v_add_co_u32_e32 v4, vcc, v7, v20
	s_ashr_i32 s1, s0, 31
	v_addc_co_u32_e32 v15, vcc, v15, v21, vcc
	s_lshl_b64 s[2:3], s[0:1], 3
	s_mov_b64 s[4:5], 0
	v_mov_b32_e32 v16, 0x3ff00000
.LBB34_11:                              ; =>This Inner Loop Header: Depth=1
	v_add_co_u32_e32 v20, vcc, v4, v0
	v_addc_co_u32_e32 v21, vcc, v15, v1, vcc
	v_add_co_u32_e32 v22, vcc, v17, v0
	v_addc_co_u32_e32 v23, vcc, v18, v1, vcc
	global_load_dwordx2 v[24:25], v[22:23], off
	global_load_dwordx2 v[26:27], v[20:21], off
	v_add_co_u32_e32 v20, vcc, v5, v0
	v_addc_co_u32_e32 v21, vcc, v14, v1, vcc
	v_mov_b32_e32 v7, s3
	v_add_co_u32_e32 v0, vcc, s2, v0
	v_add_co_u32_e64 v12, s[0:1], s2, v12
	v_addc_co_u32_e64 v13, s[0:1], v13, v7, s[0:1]
	v_addc_co_u32_e32 v1, vcc, v1, v7, vcc
	v_cmp_ge_u64_e32 vcc, v[12:13], v[10:11]
	s_or_b64 s[4:5], vcc, s[4:5]
	s_waitcnt vmcnt(0)
	v_add_f64 v[22:23], v[24:25], -v[26:27]
	v_cmp_lt_f64_e32 vcc, 0, v[22:23]
	v_cndmask_b32_e64 v19, 0, 1, vcc
	v_cmp_eq_f64_e64 vcc, |v[22:23]|, v[8:9]
	v_cndmask_b32_e32 v7, 0, v16, vcc
	v_cmp_gt_f64_e32 vcc, 0, v[22:23]
	v_subbrev_co_u32_e32 v19, vcc, 0, v19, vcc
	v_cvt_f64_i32_e32 v[22:23], v19
	v_mul_f64 v[22:23], v[2:3], v[22:23]
	v_mul_f64 v[22:23], v[22:23], v[6:7]
	global_store_dwordx2 v[20:21], v[22:23], off
	s_andn2_b64 exec, exec, s[4:5]
	s_cbranch_execnz .LBB34_11
.LBB34_12:
	s_endpgm
	.section	.rodata,"a",@progbits
	.p2align	6, 0x0
	.amdhsa_kernel _ZN2at6native12_GLOBAL__N_131cdist_backward_kernel_cuda_implIdNS1_5distsIdE3infEEEvPT_PKS6_S9_S9_S9_S6_lllllll
		.amdhsa_group_segment_fixed_size 0
		.amdhsa_private_segment_fixed_size 0
		.amdhsa_kernarg_size 360
		.amdhsa_user_sgpr_count 6
		.amdhsa_user_sgpr_private_segment_buffer 1
		.amdhsa_user_sgpr_dispatch_ptr 0
		.amdhsa_user_sgpr_queue_ptr 0
		.amdhsa_user_sgpr_kernarg_segment_ptr 1
		.amdhsa_user_sgpr_dispatch_id 0
		.amdhsa_user_sgpr_flat_scratch_init 0
		.amdhsa_user_sgpr_kernarg_preload_length 0
		.amdhsa_user_sgpr_kernarg_preload_offset 0
		.amdhsa_user_sgpr_private_segment_size 0
		.amdhsa_uses_dynamic_stack 0
		.amdhsa_system_sgpr_private_segment_wavefront_offset 0
		.amdhsa_system_sgpr_workgroup_id_x 1
		.amdhsa_system_sgpr_workgroup_id_y 1
		.amdhsa_system_sgpr_workgroup_id_z 1
		.amdhsa_system_sgpr_workgroup_info 0
		.amdhsa_system_vgpr_workitem_id 1
		.amdhsa_next_free_vgpr 28
		.amdhsa_next_free_sgpr 44
		.amdhsa_accum_offset 28
		.amdhsa_reserve_vcc 1
		.amdhsa_reserve_flat_scratch 0
		.amdhsa_float_round_mode_32 0
		.amdhsa_float_round_mode_16_64 0
		.amdhsa_float_denorm_mode_32 3
		.amdhsa_float_denorm_mode_16_64 3
		.amdhsa_dx10_clamp 1
		.amdhsa_ieee_mode 1
		.amdhsa_fp16_overflow 0
		.amdhsa_tg_split 0
		.amdhsa_exception_fp_ieee_invalid_op 0
		.amdhsa_exception_fp_denorm_src 0
		.amdhsa_exception_fp_ieee_div_zero 0
		.amdhsa_exception_fp_ieee_overflow 0
		.amdhsa_exception_fp_ieee_underflow 0
		.amdhsa_exception_fp_ieee_inexact 0
		.amdhsa_exception_int_div_zero 0
	.end_amdhsa_kernel
	.section	.text._ZN2at6native12_GLOBAL__N_131cdist_backward_kernel_cuda_implIdNS1_5distsIdE3infEEEvPT_PKS6_S9_S9_S9_S6_lllllll,"axG",@progbits,_ZN2at6native12_GLOBAL__N_131cdist_backward_kernel_cuda_implIdNS1_5distsIdE3infEEEvPT_PKS6_S9_S9_S9_S6_lllllll,comdat
.Lfunc_end34:
	.size	_ZN2at6native12_GLOBAL__N_131cdist_backward_kernel_cuda_implIdNS1_5distsIdE3infEEEvPT_PKS6_S9_S9_S9_S6_lllllll, .Lfunc_end34-_ZN2at6native12_GLOBAL__N_131cdist_backward_kernel_cuda_implIdNS1_5distsIdE3infEEEvPT_PKS6_S9_S9_S9_S6_lllllll
                                        ; -- End function
	.section	.AMDGPU.csdata,"",@progbits
; Kernel info:
; codeLenInByte = 2444
; NumSgprs: 48
; NumVgprs: 28
; NumAgprs: 0
; TotalNumVgprs: 28
; ScratchSize: 0
; MemoryBound: 0
; FloatMode: 240
; IeeeMode: 1
; LDSByteSize: 0 bytes/workgroup (compile time only)
; SGPRBlocks: 5
; VGPRBlocks: 3
; NumSGPRsForWavesPerEU: 48
; NumVGPRsForWavesPerEU: 28
; AccumOffset: 28
; Occupancy: 8
; WaveLimiterHint : 0
; COMPUTE_PGM_RSRC2:SCRATCH_EN: 0
; COMPUTE_PGM_RSRC2:USER_SGPR: 6
; COMPUTE_PGM_RSRC2:TRAP_HANDLER: 0
; COMPUTE_PGM_RSRC2:TGID_X_EN: 1
; COMPUTE_PGM_RSRC2:TGID_Y_EN: 1
; COMPUTE_PGM_RSRC2:TGID_Z_EN: 1
; COMPUTE_PGM_RSRC2:TIDIG_COMP_CNT: 1
; COMPUTE_PGM_RSRC3_GFX90A:ACCUM_OFFSET: 6
; COMPUTE_PGM_RSRC3_GFX90A:TG_SPLIT: 0
	.section	.text._ZN2at6native12_GLOBAL__N_131cdist_backward_kernel_cuda_implIfNS1_5distsIfE1pEEEvPT_PKS6_S9_S9_S9_S6_lllllll,"axG",@progbits,_ZN2at6native12_GLOBAL__N_131cdist_backward_kernel_cuda_implIfNS1_5distsIfE1pEEEvPT_PKS6_S9_S9_S9_S6_lllllll,comdat
	.globl	_ZN2at6native12_GLOBAL__N_131cdist_backward_kernel_cuda_implIfNS1_5distsIfE1pEEEvPT_PKS6_S9_S9_S9_S6_lllllll ; -- Begin function _ZN2at6native12_GLOBAL__N_131cdist_backward_kernel_cuda_implIfNS1_5distsIfE1pEEEvPT_PKS6_S9_S9_S9_S6_lllllll
	.p2align	8
	.type	_ZN2at6native12_GLOBAL__N_131cdist_backward_kernel_cuda_implIfNS1_5distsIfE1pEEEvPT_PKS6_S9_S9_S9_S6_lllllll,@function
_ZN2at6native12_GLOBAL__N_131cdist_backward_kernel_cuda_implIfNS1_5distsIfE1pEEEvPT_PKS6_S9_S9_S9_S6_lllllll: ; @_ZN2at6native12_GLOBAL__N_131cdist_backward_kernel_cuda_implIfNS1_5distsIfE1pEEEvPT_PKS6_S9_S9_S9_S6_lllllll
; %bb.0:
	s_load_dwordx2 s[0:1], s[4:5], 0x70
	s_load_dwordx8 s[12:19], s[4:5], 0x30
	s_add_u32 s2, s4, 0x68
	s_addc_u32 s3, s5, 0
	v_bfe_u32 v1, v0, 10, 10
	s_waitcnt lgkmcnt(0)
	s_mul_i32 s0, s0, s7
	s_add_i32 s0, s0, s8
	s_lshr_b32 s7, s1, 16
	s_mul_i32 s0, s0, s7
	v_add_u32_e32 v4, s0, v1
	v_ashrrev_i32_e32 v5, 31, v4
	v_cmp_gt_i64_e32 vcc, s[18:19], v[4:5]
	s_and_saveexec_b64 s[8:9], vcc
	s_cbranch_execz .LBB35_14
; %bb.1:
	s_load_dwordx8 s[20:27], s[4:5], 0x50
	s_and_b32 s18, s1, 0xffff
	s_mul_i32 s6, s6, s18
	v_and_b32_e32 v0, 0x3ff, v0
	v_add_u32_e32 v2, s6, v0
	v_ashrrev_i32_e32 v3, 31, v2
	v_cmp_gt_i64_e32 vcc, s[16:17], v[2:3]
	s_and_b64 exec, exec, vcc
	s_cbranch_execz .LBB35_14
; %bb.2:
	s_waitcnt lgkmcnt(0)
	v_or_b32_e32 v1, s21, v5
	v_mov_b32_e32 v0, 0
	v_cmp_ne_u64_e32 vcc, 0, v[0:1]
                                        ; implicit-def: $vgpr6_vgpr7
	s_and_saveexec_b64 s[0:1], vcc
	s_xor_b64 s[6:7], exec, s[0:1]
	s_cbranch_execz .LBB35_4
; %bb.3:
	s_ashr_i32 s8, s21, 31
	s_add_u32 s0, s20, s8
	s_mov_b32 s9, s8
	s_addc_u32 s1, s21, s8
	s_xor_b64 s[10:11], s[0:1], s[8:9]
	v_cvt_f32_u32_e32 v0, s10
	v_cvt_f32_u32_e32 v1, s11
	s_sub_u32 s0, 0, s10
	s_subb_u32 s1, 0, s11
	v_madmk_f32 v0, v1, 0x4f800000, v0
	v_rcp_f32_e32 v0, v0
	v_mul_f32_e32 v0, 0x5f7ffffc, v0
	v_mul_f32_e32 v1, 0x2f800000, v0
	v_trunc_f32_e32 v1, v1
	v_madmk_f32 v0, v1, 0xcf800000, v0
	v_cvt_u32_f32_e32 v1, v1
	v_cvt_u32_f32_e32 v0, v0
	v_mul_lo_u32 v6, s0, v1
	v_mul_hi_u32 v8, s0, v0
	v_mul_lo_u32 v7, s1, v0
	v_add_u32_e32 v6, v8, v6
	v_mul_lo_u32 v9, s0, v0
	v_add_u32_e32 v6, v6, v7
	v_mul_lo_u32 v8, v0, v6
	v_mul_hi_u32 v10, v0, v9
	v_mul_hi_u32 v7, v0, v6
	v_add_co_u32_e32 v8, vcc, v10, v8
	v_addc_co_u32_e32 v7, vcc, 0, v7, vcc
	v_mul_hi_u32 v11, v1, v9
	v_mul_lo_u32 v9, v1, v9
	v_add_co_u32_e32 v8, vcc, v8, v9
	v_mul_hi_u32 v10, v1, v6
	v_addc_co_u32_e32 v7, vcc, v7, v11, vcc
	v_addc_co_u32_e32 v8, vcc, 0, v10, vcc
	v_mul_lo_u32 v6, v1, v6
	v_add_co_u32_e32 v6, vcc, v7, v6
	v_addc_co_u32_e32 v7, vcc, 0, v8, vcc
	v_add_co_u32_e32 v0, vcc, v0, v6
	v_addc_co_u32_e32 v1, vcc, v1, v7, vcc
	v_mul_lo_u32 v6, s0, v1
	v_mul_hi_u32 v7, s0, v0
	v_add_u32_e32 v6, v7, v6
	v_mul_lo_u32 v7, s1, v0
	v_add_u32_e32 v6, v6, v7
	v_mul_lo_u32 v8, s0, v0
	v_mul_hi_u32 v9, v1, v8
	v_mul_lo_u32 v10, v1, v8
	v_mul_lo_u32 v12, v0, v6
	v_mul_hi_u32 v8, v0, v8
	v_mul_hi_u32 v11, v0, v6
	v_add_co_u32_e32 v8, vcc, v8, v12
	v_addc_co_u32_e32 v11, vcc, 0, v11, vcc
	v_add_co_u32_e32 v8, vcc, v8, v10
	v_mul_hi_u32 v7, v1, v6
	v_addc_co_u32_e32 v8, vcc, v11, v9, vcc
	v_addc_co_u32_e32 v7, vcc, 0, v7, vcc
	v_mul_lo_u32 v6, v1, v6
	v_add_co_u32_e32 v6, vcc, v8, v6
	v_addc_co_u32_e32 v7, vcc, 0, v7, vcc
	v_add_co_u32_e32 v6, vcc, v0, v6
	v_addc_co_u32_e32 v7, vcc, v1, v7, vcc
	v_ashrrev_i32_e32 v8, 31, v5
	v_add_co_u32_e32 v0, vcc, v4, v8
	v_addc_co_u32_e32 v1, vcc, v5, v8, vcc
	v_xor_b32_e32 v10, v0, v8
	v_xor_b32_e32 v9, v1, v8
	v_mad_u64_u32 v[0:1], s[0:1], v10, v7, 0
	v_mul_hi_u32 v11, v10, v6
	v_add_co_u32_e32 v11, vcc, v11, v0
	v_addc_co_u32_e32 v12, vcc, 0, v1, vcc
	v_mad_u64_u32 v[0:1], s[0:1], v9, v7, 0
	v_mad_u64_u32 v[6:7], s[0:1], v9, v6, 0
	v_add_co_u32_e32 v6, vcc, v11, v6
	v_addc_co_u32_e32 v6, vcc, v12, v7, vcc
	v_addc_co_u32_e32 v1, vcc, 0, v1, vcc
	v_add_co_u32_e32 v6, vcc, v6, v0
	v_addc_co_u32_e32 v7, vcc, 0, v1, vcc
	v_mul_lo_u32 v11, s11, v6
	v_mul_lo_u32 v12, s10, v7
	v_mad_u64_u32 v[0:1], s[0:1], s10, v6, 0
	v_add3_u32 v1, v1, v12, v11
	v_sub_u32_e32 v11, v9, v1
	v_mov_b32_e32 v12, s11
	v_sub_co_u32_e32 v0, vcc, v10, v0
	v_subb_co_u32_e64 v10, s[0:1], v11, v12, vcc
	v_subrev_co_u32_e64 v11, s[0:1], s10, v0
	v_subbrev_co_u32_e64 v10, s[0:1], 0, v10, s[0:1]
	v_cmp_le_u32_e64 s[0:1], s11, v10
	v_cndmask_b32_e64 v12, 0, -1, s[0:1]
	v_cmp_le_u32_e64 s[0:1], s10, v11
	v_cndmask_b32_e64 v11, 0, -1, s[0:1]
	v_cmp_eq_u32_e64 s[0:1], s11, v10
	v_cndmask_b32_e64 v10, v12, v11, s[0:1]
	v_add_co_u32_e64 v11, s[0:1], 2, v6
	v_subb_co_u32_e32 v1, vcc, v9, v1, vcc
	v_addc_co_u32_e64 v12, s[0:1], 0, v7, s[0:1]
	v_cmp_le_u32_e32 vcc, s11, v1
	v_add_co_u32_e64 v13, s[0:1], 1, v6
	v_cndmask_b32_e64 v9, 0, -1, vcc
	v_cmp_le_u32_e32 vcc, s10, v0
	v_addc_co_u32_e64 v14, s[0:1], 0, v7, s[0:1]
	v_cndmask_b32_e64 v0, 0, -1, vcc
	v_cmp_eq_u32_e32 vcc, s11, v1
	v_cmp_ne_u32_e64 s[0:1], 0, v10
	v_cndmask_b32_e32 v0, v9, v0, vcc
	v_cndmask_b32_e64 v10, v14, v12, s[0:1]
	v_cmp_ne_u32_e32 vcc, 0, v0
	v_cndmask_b32_e64 v1, v13, v11, s[0:1]
	v_cndmask_b32_e32 v0, v7, v10, vcc
	v_cndmask_b32_e32 v1, v6, v1, vcc
	v_xor_b32_e32 v7, s8, v8
	v_xor_b32_e32 v1, v1, v7
	;; [unrolled: 1-line block ×3, first 2 shown]
	v_sub_co_u32_e32 v6, vcc, v1, v7
	v_subb_co_u32_e32 v7, vcc, v0, v7, vcc
.LBB35_4:
	s_andn2_saveexec_b64 s[0:1], s[6:7]
	s_cbranch_execz .LBB35_6
; %bb.5:
	v_cvt_f32_u32_e32 v0, s20
	s_sub_i32 s6, 0, s20
	v_rcp_iflag_f32_e32 v0, v0
	v_mul_f32_e32 v0, 0x4f7ffffe, v0
	v_cvt_u32_f32_e32 v0, v0
	v_mul_lo_u32 v1, s6, v0
	v_mul_hi_u32 v1, v0, v1
	v_add_u32_e32 v0, v0, v1
	v_mul_hi_u32 v0, v4, v0
	v_mul_lo_u32 v1, v0, s20
	v_sub_u32_e32 v1, v4, v1
	v_add_u32_e32 v6, 1, v0
	v_subrev_u32_e32 v7, s20, v1
	v_cmp_le_u32_e32 vcc, s20, v1
	v_cndmask_b32_e32 v1, v1, v7, vcc
	v_cndmask_b32_e32 v0, v0, v6, vcc
	v_add_u32_e32 v6, 1, v0
	v_cmp_le_u32_e32 vcc, s20, v1
	v_cndmask_b32_e32 v6, v0, v6, vcc
	v_mov_b32_e32 v7, 0
.LBB35_6:
	s_or_b64 exec, exec, s[0:1]
	v_mul_lo_u32 v0, v7, s20
	v_mul_lo_u32 v1, v6, s21
	v_mad_u64_u32 v[8:9], s[0:1], v6, s20, 0
	v_add3_u32 v0, v9, v1, v0
	v_sub_co_u32_e32 v13, vcc, v4, v8
	v_subb_co_u32_e32 v14, vcc, v5, v0, vcc
	v_or_b32_e32 v1, s15, v14
	v_mov_b32_e32 v0, 0
	v_cmp_ne_u64_e32 vcc, 0, v[0:1]
                                        ; implicit-def: $vgpr10_vgpr11
	s_and_saveexec_b64 s[0:1], vcc
	s_xor_b64 s[6:7], exec, s[0:1]
	s_cbranch_execz .LBB35_8
; %bb.7:
	s_ashr_i32 s8, s15, 31
	s_add_u32 s0, s14, s8
	s_mov_b32 s9, s8
	s_addc_u32 s1, s15, s8
	s_xor_b64 s[10:11], s[0:1], s[8:9]
	v_cvt_f32_u32_e32 v0, s10
	v_cvt_f32_u32_e32 v1, s11
	s_sub_u32 s0, 0, s10
	s_subb_u32 s1, 0, s11
	v_madmk_f32 v0, v1, 0x4f800000, v0
	v_rcp_f32_e32 v0, v0
	v_mul_f32_e32 v0, 0x5f7ffffc, v0
	v_mul_f32_e32 v1, 0x2f800000, v0
	v_trunc_f32_e32 v1, v1
	v_madmk_f32 v0, v1, 0xcf800000, v0
	v_cvt_u32_f32_e32 v1, v1
	v_cvt_u32_f32_e32 v0, v0
	v_mul_lo_u32 v7, s0, v1
	v_mul_hi_u32 v10, s0, v0
	v_mul_lo_u32 v9, s1, v0
	v_add_u32_e32 v7, v10, v7
	v_mul_lo_u32 v11, s0, v0
	v_add_u32_e32 v7, v7, v9
	v_mul_lo_u32 v10, v0, v7
	v_mul_hi_u32 v12, v0, v11
	v_mul_hi_u32 v9, v0, v7
	v_add_co_u32_e32 v10, vcc, v12, v10
	v_addc_co_u32_e32 v9, vcc, 0, v9, vcc
	v_mul_hi_u32 v15, v1, v11
	v_mul_lo_u32 v11, v1, v11
	v_add_co_u32_e32 v10, vcc, v10, v11
	v_mul_hi_u32 v12, v1, v7
	v_addc_co_u32_e32 v9, vcc, v9, v15, vcc
	v_addc_co_u32_e32 v10, vcc, 0, v12, vcc
	v_mul_lo_u32 v7, v1, v7
	v_add_co_u32_e32 v7, vcc, v9, v7
	v_addc_co_u32_e32 v9, vcc, 0, v10, vcc
	v_add_co_u32_e32 v0, vcc, v0, v7
	v_addc_co_u32_e32 v1, vcc, v1, v9, vcc
	v_mul_lo_u32 v7, s0, v1
	v_mul_hi_u32 v9, s0, v0
	v_add_u32_e32 v7, v9, v7
	v_mul_lo_u32 v9, s1, v0
	v_add_u32_e32 v7, v7, v9
	v_mul_lo_u32 v10, s0, v0
	v_mul_hi_u32 v11, v1, v10
	v_mul_lo_u32 v12, v1, v10
	v_mul_lo_u32 v16, v0, v7
	v_mul_hi_u32 v10, v0, v10
	v_mul_hi_u32 v15, v0, v7
	v_add_co_u32_e32 v10, vcc, v10, v16
	v_addc_co_u32_e32 v15, vcc, 0, v15, vcc
	v_add_co_u32_e32 v10, vcc, v10, v12
	v_mul_hi_u32 v9, v1, v7
	v_addc_co_u32_e32 v10, vcc, v15, v11, vcc
	v_addc_co_u32_e32 v9, vcc, 0, v9, vcc
	v_mul_lo_u32 v7, v1, v7
	v_add_co_u32_e32 v7, vcc, v10, v7
	v_addc_co_u32_e32 v9, vcc, 0, v9, vcc
	v_add_co_u32_e32 v7, vcc, v0, v7
	v_addc_co_u32_e32 v9, vcc, v1, v9, vcc
	v_ashrrev_i32_e32 v12, 31, v14
	v_add_co_u32_e32 v0, vcc, v13, v12
	v_addc_co_u32_e32 v1, vcc, v14, v12, vcc
	v_xor_b32_e32 v16, v0, v12
	v_xor_b32_e32 v15, v1, v12
	v_mad_u64_u32 v[0:1], s[0:1], v16, v9, 0
	v_mul_hi_u32 v10, v16, v7
	v_add_co_u32_e32 v17, vcc, v10, v0
	v_addc_co_u32_e32 v18, vcc, 0, v1, vcc
	v_mad_u64_u32 v[10:11], s[0:1], v15, v7, 0
	v_add_co_u32_e32 v7, vcc, v17, v10
	v_mad_u64_u32 v[0:1], s[0:1], v15, v9, 0
	v_addc_co_u32_e32 v7, vcc, v18, v11, vcc
	v_addc_co_u32_e32 v1, vcc, 0, v1, vcc
	v_add_co_u32_e32 v7, vcc, v7, v0
	v_addc_co_u32_e32 v9, vcc, 0, v1, vcc
	v_mul_lo_u32 v10, s11, v7
	v_mul_lo_u32 v11, s10, v9
	v_mad_u64_u32 v[0:1], s[0:1], s10, v7, 0
	v_add3_u32 v1, v1, v11, v10
	v_sub_u32_e32 v10, v15, v1
	v_mov_b32_e32 v11, s11
	v_sub_co_u32_e32 v0, vcc, v16, v0
	v_subb_co_u32_e64 v10, s[0:1], v10, v11, vcc
	v_subrev_co_u32_e64 v11, s[0:1], s10, v0
	v_subbrev_co_u32_e64 v10, s[0:1], 0, v10, s[0:1]
	v_cmp_le_u32_e64 s[0:1], s11, v10
	v_cndmask_b32_e64 v16, 0, -1, s[0:1]
	v_cmp_le_u32_e64 s[0:1], s10, v11
	v_cndmask_b32_e64 v11, 0, -1, s[0:1]
	v_cmp_eq_u32_e64 s[0:1], s11, v10
	v_cndmask_b32_e64 v10, v16, v11, s[0:1]
	v_add_co_u32_e64 v11, s[0:1], 2, v7
	v_subb_co_u32_e32 v1, vcc, v15, v1, vcc
	v_addc_co_u32_e64 v16, s[0:1], 0, v9, s[0:1]
	v_cmp_le_u32_e32 vcc, s11, v1
	v_add_co_u32_e64 v17, s[0:1], 1, v7
	v_cndmask_b32_e64 v15, 0, -1, vcc
	v_cmp_le_u32_e32 vcc, s10, v0
	v_addc_co_u32_e64 v18, s[0:1], 0, v9, s[0:1]
	v_cndmask_b32_e64 v0, 0, -1, vcc
	v_cmp_eq_u32_e32 vcc, s11, v1
	v_cmp_ne_u32_e64 s[0:1], 0, v10
	v_cndmask_b32_e32 v0, v15, v0, vcc
	v_cmp_ne_u32_e32 vcc, 0, v0
	v_cndmask_b32_e64 v1, v17, v11, s[0:1]
	v_cndmask_b32_e64 v10, v18, v16, s[0:1]
	v_cndmask_b32_e32 v1, v7, v1, vcc
	v_xor_b32_e32 v7, s8, v12
	v_cndmask_b32_e32 v0, v9, v10, vcc
	v_xor_b32_e32 v1, v1, v7
	v_xor_b32_e32 v0, v0, v7
	v_sub_co_u32_e32 v10, vcc, v1, v7
	v_subb_co_u32_e32 v11, vcc, v0, v7, vcc
.LBB35_8:
	s_or_saveexec_b64 s[0:1], s[6:7]
	s_load_dword s2, s[2:3], 0x0
	s_xor_b64 exec, exec, s[0:1]
	s_cbranch_execz .LBB35_10
; %bb.9:
	v_cvt_f32_u32_e32 v0, s14
	s_sub_i32 s3, 0, s14
	v_mov_b32_e32 v11, 0
	v_rcp_iflag_f32_e32 v0, v0
	v_mul_f32_e32 v0, 0x4f7ffffe, v0
	v_cvt_u32_f32_e32 v0, v0
	v_mul_lo_u32 v1, s3, v0
	v_mul_hi_u32 v1, v0, v1
	v_add_u32_e32 v0, v0, v1
	v_mul_hi_u32 v0, v13, v0
	v_mul_lo_u32 v1, v0, s14
	v_sub_u32_e32 v1, v13, v1
	v_add_u32_e32 v7, 1, v0
	v_subrev_u32_e32 v9, s14, v1
	v_cmp_le_u32_e32 vcc, s14, v1
	v_cndmask_b32_e32 v1, v1, v9, vcc
	v_cndmask_b32_e32 v0, v0, v7, vcc
	v_add_u32_e32 v7, 1, v0
	v_cmp_le_u32_e32 vcc, s14, v1
	v_cndmask_b32_e32 v10, v0, v7, vcc
.LBB35_10:
	s_or_b64 exec, exec, s[0:1]
	s_load_dwordx8 s[36:43], s[4:5], 0x0
	s_load_dwordx2 s[0:1], s[4:5], 0x20
	s_load_dword s3, s[4:5], 0x28
	v_lshlrev_b64 v[0:1], 2, v[4:5]
	v_ashrrev_i32_e32 v15, 31, v6
	s_waitcnt lgkmcnt(0)
	v_mov_b32_e32 v5, s39
	v_add_co_u32_e32 v4, vcc, s38, v0
	v_addc_co_u32_e32 v5, vcc, v5, v1, vcc
	global_load_dword v7, v[4:5], off
	v_mul_lo_u32 v9, v6, s23
	v_mul_lo_u32 v12, v15, s22
	v_mad_u64_u32 v[4:5], s[4:5], v6, s22, 0
	v_add3_u32 v5, v5, v9, v12
	v_mov_b32_e32 v12, s1
	v_add_co_u32_e32 v0, vcc, s0, v0
	v_addc_co_u32_e32 v1, vcc, v12, v1, vcc
	global_load_dword v17, v[0:1], off
	v_lshlrev_b64 v[4:5], 2, v[4:5]
	v_mov_b32_e32 v9, s41
	v_add_co_u32_e32 v4, vcc, s40, v4
	v_addc_co_u32_e32 v5, vcc, v9, v5, vcc
	v_mul_lo_u32 v9, v11, s16
	v_mul_lo_u32 v12, v10, s17
	v_mad_u64_u32 v[0:1], s[0:1], v10, s16, 0
	v_add3_u32 v1, v1, v12, v9
	v_lshlrev_b64 v[0:1], 2, v[0:1]
	v_add_co_u32_e32 v9, vcc, v4, v0
	v_addc_co_u32_e32 v12, vcc, v5, v1, vcc
	s_lshl_b64 s[0:1], s[16:17], 2
	v_mov_b32_e32 v1, s1
	v_add_co_u32_e32 v0, vcc, s0, v9
	v_addc_co_u32_e32 v1, vcc, v12, v1, vcc
	v_lshlrev_b64 v[2:3], 2, v[2:3]
	v_add_co_u32_e32 v4, vcc, v9, v2
	v_mul_lo_u32 v19, s16, v8
	v_mov_b32_e32 v18, 0
	v_addc_co_u32_e32 v5, vcc, v12, v3, vcc
	v_ashrrev_i64 v[18:19], 30, v[18:19]
	v_mov_b32_e32 v8, s37
	v_add_co_u32_e32 v16, vcc, s36, v18
	v_addc_co_u32_e32 v20, vcc, v8, v19, vcc
	v_mul_lo_u32 v8, v11, s14
	v_mul_lo_u32 v21, v10, s15
	v_mad_u64_u32 v[18:19], s[0:1], v10, s14, 0
	v_add3_u32 v8, v19, v21, v8
	v_sub_co_u32_e32 v13, vcc, v13, v18
	v_subb_co_u32_e32 v18, vcc, v14, v8, vcc
	v_mul_lo_u32 v8, v13, s13
	v_mul_lo_u32 v14, v18, s12
	v_mad_u64_u32 v[10:11], s[0:1], v13, s12, v[10:11]
	v_add3_u32 v8, v14, v11, v8
	v_mul_lo_u32 v8, v8, s16
	v_mul_lo_u32 v14, v10, s17
	v_mad_u64_u32 v[10:11], s[0:1], v10, s16, 0
	v_add3_u32 v11, v11, v14, v8
	v_lshlrev_b64 v[10:11], 2, v[10:11]
	v_add_co_u32_e32 v8, vcc, v16, v10
	v_addc_co_u32_e32 v10, vcc, v20, v11, vcc
	v_mul_lo_u32 v11, v6, s25
	v_mul_lo_u32 v16, v15, s24
	v_mad_u64_u32 v[14:15], s[0:1], v6, s24, 0
	v_add3_u32 v15, v15, v11, v16
	v_lshlrev_b64 v[14:15], 2, v[14:15]
	v_mov_b32_e32 v6, s43
	v_add_co_u32_e32 v11, vcc, s42, v14
	v_addc_co_u32_e32 v16, vcc, v6, v15, vcc
	v_mul_lo_u32 v6, v18, s16
	v_mul_lo_u32 v18, v13, s17
	v_mad_u64_u32 v[14:15], s[0:1], v13, s16, 0
	v_add3_u32 v15, v15, v18, v6
	v_lshlrev_b64 v[14:15], 2, v[14:15]
	v_add_co_u32_e32 v6, vcc, v11, v14
	v_addc_co_u32_e32 v11, vcc, v16, v15, vcc
	v_add_f32_e64 v34, s3, -1.0
	s_waitcnt vmcnt(0)
	v_cmp_eq_f32_e32 vcc, 1.0, v17
	v_cndmask_b32_e64 v35, v34, 1.0, vcc
	s_mul_i32 s6, s2, s18
	v_add_f32_e64 v13, s3, -2.0
	v_cmp_eq_f32_e64 s[2:3], 0, v35
	v_cndmask_b32_e64 v36, |v17|, 1.0, s[2:3]
	v_frexp_mant_f32_e32 v14, v36
	s_mov_b32 s18, 0x3f2aaaab
	v_cmp_gt_f32_e64 s[4:5], s18, v14
	v_cndmask_b32_e64 v15, 1.0, 2.0, s[4:5]
	v_mul_f32_e32 v14, v14, v15
	v_add_f32_e32 v16, 1.0, v14
	v_rcp_f32_e32 v24, v16
	v_add_f32_e32 v15, -1.0, v16
	v_sub_f32_e32 v19, v14, v15
	v_add_f32_e32 v15, -1.0, v14
	v_mul_f32_e32 v25, v15, v24
	v_mul_f32_e32 v18, v16, v25
	v_fma_f32 v20, v25, v16, -v18
	v_fmac_f32_e32 v20, v25, v19
	v_add_f32_e32 v14, v18, v20
	v_sub_f32_e32 v19, v15, v14
	v_pk_add_f32 v[22:23], v[14:15], v[18:19] neg_lo:[0,1] neg_hi:[0,1]
	v_mov_b32_e32 v21, v14
	v_pk_add_f32 v[14:15], v[22:23], v[20:21] neg_lo:[0,1] neg_hi:[0,1]
	v_add_f32_e32 v14, v14, v15
	v_add_f32_e32 v14, v19, v14
	v_mul_f32_e32 v14, v24, v14
	v_add_f32_e32 v18, v25, v14
	v_sub_f32_e32 v15, v18, v25
	v_sub_f32_e32 v15, v14, v15
	v_mul_f32_e32 v16, v18, v18
	v_fma_f32 v19, v18, v18, -v16
	v_add_f32_e32 v14, v15, v15
	v_fmac_f32_e32 v19, v18, v14
	v_add_f32_e32 v20, v16, v19
	v_mov_b32_e32 v21, 0x3e91f4c4
	v_fmac_f32_e32 v21, 0x3e76c4e1, v20
	v_mov_b32_e32 v14, 0x3ecccdef
	v_fma_f32 v21, v20, v21, v14
	v_sub_f32_e32 v16, v20, v16
	v_sub_f32_e32 v16, v19, v16
	v_mul_f32_e32 v19, v20, v21
	v_fma_f32 v22, v20, v21, -v19
	v_fmac_f32_e32 v22, v16, v21
	v_add_f32_e32 v21, v19, v22
	v_add_f32_e32 v23, 0x3f2aaaaa, v21
	v_sub_f32_e32 v19, v21, v19
	v_sub_f32_e32 v19, v22, v19
	v_add_f32_e32 v22, 0xbf2aaaaa, v23
	v_add_f32_e32 v19, 0x31739010, v19
	v_sub_f32_e32 v21, v21, v22
	v_pk_mul_f32 v[24:25], v[18:19], v[20:21]
	v_fma_f32 v22, v20, v18, -v24
	v_pk_add_f32 v[26:27], v[18:19], v[20:21]
	v_fmac_f32_e32 v22, v20, v15
	v_mov_b32_e32 v25, v27
	v_fmac_f32_e32 v22, v16, v18
	v_pk_add_f32 v[20:21], v[24:25], v[22:23]
	v_sub_f32_e32 v16, v20, v24
	v_sub_f32_e32 v19, v22, v16
	;; [unrolled: 1-line block ×3, first 2 shown]
	v_add_f32_e32 v25, v27, v16
	v_mov_b32_e32 v16, v21
	v_cvt_f64_f32_e32 v[26:27], v36
	v_pk_mul_f32 v[22:23], v[20:21], v[16:17]
	v_frexp_exp_i32_f64_e32 v16, v[26:27]
	v_subbrev_co_u32_e64 v16, s[4:5], 0, v16, s[4:5]
	v_cvt_f32_i32_e32 v16, v16
	v_fma_f32 v24, v20, v21, -v22
	v_fmac_f32_e32 v24, v20, v25
	s_mov_b32 s19, 0x3f317218
	v_mul_f32_e32 v20, 0x3f317218, v16
	v_fmac_f32_e32 v24, v19, v21
	v_fma_f32 v26, v16, s19, -v20
	v_fmac_f32_e32 v26, 0xb102e308, v16
	v_ldexp_f32 v27, v18, 1
	v_add_f32_e32 v21, v22, v24
	v_pk_add_f32 v[18:19], v[20:21], v[26:27]
	v_mov_b32_e32 v28, v21
	v_mov_b32_e32 v29, v19
	;; [unrolled: 1-line block ×3, first 2 shown]
	v_pk_add_f32 v[22:23], v[28:29], v[22:23] neg_lo:[0,1] neg_hi:[0,1]
	v_mov_b32_e32 v25, v21
	v_ldexp_f32 v15, v15, 1
	v_pk_add_f32 v[22:23], v[24:25], v[22:23] neg_lo:[0,1] neg_hi:[0,1]
	v_add_f32_e32 v15, v15, v22
	v_add_f32_e32 v21, v15, v23
	v_pk_add_f32 v[22:23], v[18:19], v[20:21] neg_lo:[0,1] neg_hi:[0,1]
	v_pk_add_f32 v[24:25], v[18:19], v[20:21]
	v_mov_b32_e32 v28, v22
	v_mov_b32_e32 v29, v25
	;; [unrolled: 1-line block ×3, first 2 shown]
	v_pk_add_f32 v[28:29], v[26:27], v[28:29]
	v_mov_b32_e32 v16, v29
	v_pk_add_f32 v[30:31], v[16:17], v[18:19] neg_lo:[0,1] neg_hi:[0,1]
	v_mov_b32_e32 v15, v30
	v_mov_b32_e32 v28, v25
	;; [unrolled: 1-line block ×4, first 2 shown]
	v_pk_add_f32 v[22:23], v[26:27], v[22:23] neg_lo:[0,1] neg_hi:[0,1]
	v_pk_add_f32 v[32:33], v[24:25], v[14:15] neg_lo:[0,1] neg_hi:[0,1]
	;; [unrolled: 1-line block ×3, first 2 shown]
	v_mov_b32_e32 v26, v21
	v_pk_add_f32 v[18:19], v[26:27], v[18:19] neg_lo:[0,1] neg_hi:[0,1]
	v_mov_b32_e32 v32, v22
	v_pk_add_f32 v[20:21], v[32:33], v[18:19]
	v_mov_b32_e32 v24, v21
	v_pk_add_f32 v[24:25], v[20:21], v[24:25]
	v_pk_add_f32 v[26:27], v[16:17], v[24:25]
	v_mov_b32_e32 v23, v29
	v_mov_b32_e32 v21, v26
	v_pk_add_f32 v[28:29], v[20:21], v[22:23] neg_lo:[0,1] neg_hi:[0,1]
	v_mov_b32_e32 v19, v24
	v_sub_f32_e32 v15, v20, v28
	v_pk_add_f32 v[18:19], v[18:19], v[28:29] neg_lo:[0,1] neg_hi:[0,1]
	v_sub_f32_e32 v15, v22, v15
	v_add_f32_e32 v15, v18, v15
	v_add_f32_e32 v15, v15, v19
	;; [unrolled: 1-line block ×3, first 2 shown]
	v_sub_f32_e32 v18, v16, v26
	v_sub_f32_e32 v15, v15, v18
	v_mul_f32_e32 v18, v35, v16
	v_fma_f32 v16, v35, v16, -v18
	v_fmac_f32_e32 v16, v35, v15
	s_movk_i32 s20, 0x204
	v_add_f32_e32 v15, v18, v16
	v_cmp_class_f32_e64 s[4:5], v18, s20
	v_sub_f32_e32 v19, v15, v18
	v_cndmask_b32_e64 v18, v15, v18, s[4:5]
	s_mov_b32 s22, 0x42b17218
	v_mov_b32_e32 v15, 0x37000000
	v_cmp_eq_f32_e64 s[4:5], s22, v18
	v_sub_f32_e32 v16, v16, v19
	v_cndmask_b32_e64 v19, 0, v15, s[4:5]
	v_sub_f32_e32 v20, v18, v19
	s_mov_b32 s23, 0x3fb8aa3b
	v_mul_f32_e32 v21, 0x3fb8aa3b, v20
	v_fma_f32 v22, v20, s23, -v21
	v_rndne_f32_e32 v23, v21
	v_fmac_f32_e32 v22, 0x32a5705f, v20
	v_sub_f32_e32 v21, v21, v23
	v_add_f32_e32 v21, v21, v22
	v_exp_f32_e32 v21, v21
	v_cvt_i32_f32_e32 v22, v23
	s_mov_b32 s21, 0x7f800000
	v_cmp_neq_f32_e64 s[4:5], |v18|, s21
	v_cndmask_b32_e64 v16, 0, v16, s[4:5]
	s_mov_b32 s24, 0xc2ce8ed0
	v_add_f32_e32 v18, v19, v16
	v_ldexp_f32 v16, v21, v22
	v_cmp_ngt_f32_e64 s[4:5], s24, v20
	v_cndmask_b32_e64 v19, 0, v16, s[4:5]
	v_mov_b32_e32 v16, 0x7f800000
	v_cmp_nlt_f32_e64 s[4:5], s22, v20
	v_cndmask_b32_e64 v19, v16, v19, s[4:5]
	v_fma_f32 v18, v19, v18, v19
	v_cmp_class_f32_e64 s[4:5], v19, s20
	v_trunc_f32_e32 v20, v35
	v_cndmask_b32_e64 v18, v18, v19, s[4:5]
	v_cndmask_b32_e64 v19, v17, 1.0, s[2:3]
	v_cmp_eq_f32_e64 s[2:3], v20, v35
	v_mul_f32_e32 v20, 0.5, v35
	v_trunc_f32_e32 v21, v20
	v_cmp_neq_f32_e64 s[4:5], v21, v20
	s_and_b64 s[4:5], s[2:3], s[4:5]
	v_cndmask_b32_e64 v20, 1.0, v19, s[4:5]
	s_brev_b32 s7, -2
	v_cmp_neq_f32_e64 s[0:1], 0, v17
	v_mov_b32_e32 v17, 0x7fc00000
	v_bfi_b32 v18, s7, v18, v20
	v_cndmask_b32_e64 v20, v17, v18, s[2:3]
	v_cmp_gt_f32_e64 s[2:3], 0, v19
	v_cndmask_b32_e64 v18, v18, v20, s[2:3]
	v_cndmask_b32_e64 v20, |v34|, 1.0, vcc
	v_cmp_neq_f32_e32 vcc, v35, v20
	v_cmp_gt_f32_e64 s[2:3], 1.0, v36
	s_xor_b64 s[2:3], vcc, s[2:3]
	v_cndmask_b32_e64 v21, v20, 0, s[2:3]
	v_cmp_eq_f32_e32 vcc, 1.0, v36
	v_cndmask_b32_e32 v21, v21, v36, vcc
	v_cmp_eq_f32_e32 vcc, s21, v20
	v_cndmask_b32_e32 v18, v18, v21, vcc
	v_cmp_gt_f32_e32 vcc, 0, v35
	v_cndmask_b32_e64 v20, v16, 0, vcc
	v_cndmask_b32_e64 v21, 0, v19, s[4:5]
	v_bfi_b32 v20, s7, v20, v21
	v_cmp_eq_f32_e32 vcc, s21, v36
	v_cndmask_b32_e32 v18, v18, v20, vcc
	v_cmp_o_f32_e32 vcc, v19, v35
	s_ashr_i32 s7, s6, 31
	v_cndmask_b32_e32 v18, v17, v18, vcc
	s_lshl_b64 s[12:13], s[6:7], 2
	s_mov_b64 s[14:15], 0
	s_branch .LBB35_12
.LBB35_11:                              ;   in Loop: Header=BB35_12 Depth=1
	s_or_b64 exec, exec, s[16:17]
	v_add_co_u32_e32 v20, vcc, v8, v2
	v_addc_co_u32_e32 v21, vcc, v10, v3, vcc
	global_store_dword v[20:21], v19, off
	v_mov_b32_e32 v19, s13
	v_add_co_u32_e32 v4, vcc, s12, v4
	v_addc_co_u32_e32 v5, vcc, v5, v19, vcc
	v_cmp_ge_u64_e32 vcc, v[4:5], v[0:1]
	s_or_b64 s[14:15], vcc, s[14:15]
	v_add_co_u32_e32 v2, vcc, s12, v2
	v_addc_co_u32_e32 v3, vcc, v3, v19, vcc
	s_andn2_b64 exec, exec, s[14:15]
	s_cbranch_execz .LBB35_14
.LBB35_12:                              ; =>This Inner Loop Header: Depth=1
	v_mov_b32_e32 v19, 0
	s_and_saveexec_b64 s[16:17], s[0:1]
	s_cbranch_execz .LBB35_11
; %bb.13:                               ;   in Loop: Header=BB35_12 Depth=1
	v_add_co_u32_e32 v20, vcc, v6, v2
	v_addc_co_u32_e32 v21, vcc, v11, v3, vcc
	v_add_co_u32_e32 v22, vcc, v9, v2
	v_addc_co_u32_e32 v23, vcc, v12, v3, vcc
	global_load_dword v19, v[22:23], off
	global_load_dword v24, v[20:21], off
	v_mov_b32_e32 v25, 0x3e91f4c4
	s_waitcnt vmcnt(0)
	v_sub_f32_e32 v19, v19, v24
	v_cmp_eq_f32_e64 s[2:3], |v19|, 1.0
	v_cndmask_b32_e64 v20, v13, 1.0, s[2:3]
	v_cmp_neq_f32_e32 vcc, 0, v20
	v_cndmask_b32_e64 v21, 1.0, |v19|, vcc
	v_frexp_mant_f32_e32 v24, v21
	v_cmp_gt_f32_e64 s[10:11], s18, v24
	v_cndmask_b32_e64 v26, 1.0, 2.0, s[10:11]
	v_mul_f32_e32 v24, v24, v26
	v_cndmask_b32_e64 v36, |v13|, 1.0, s[2:3]
	v_cmp_gt_f32_e64 s[4:5], 0, v20
	v_cvt_f64_f32_e32 v[22:23], v21
	v_cmp_eq_f32_e64 s[2:3], 0, v21
	v_add_f32_e32 v27, 1.0, v24
	v_cmp_neq_f32_e64 s[6:7], v20, v36
	v_cmp_gt_f32_e64 s[8:9], 1.0, v21
	v_frexp_exp_i32_f64_e32 v22, v[22:23]
	s_xor_b64 s[4:5], s[4:5], s[2:3]
	v_rcp_f32_e32 v32, v27
	s_xor_b64 s[6:7], s[6:7], s[8:9]
	v_cndmask_b32_e64 v37, v16, 0, s[4:5]
	v_subbrev_co_u32_e64 v22, s[4:5], 0, v22, s[10:11]
	v_cndmask_b32_e64 v23, v36, 0, s[6:7]
	v_cmp_eq_f32_e64 s[4:5], 1.0, v21
	v_cvt_f32_i32_e32 v22, v22
	v_cndmask_b32_e64 v38, v23, v21, s[4:5]
	v_add_f32_e32 v23, -1.0, v24
	v_mul_f32_e32 v33, v23, v32
	v_add_f32_e32 v26, -1.0, v27
	v_mul_f32_e32 v28, v27, v33
	v_sub_f32_e32 v29, v24, v26
	v_mul_f32_e32 v24, 0x3f317218, v22
	v_fma_f32 v30, v33, v27, -v28
	v_fma_f32 v26, v22, s19, -v24
	v_fmac_f32_e32 v30, v33, v29
	v_fmac_f32_e32 v26, 0xb102e308, v22
	v_add_f32_e32 v22, v28, v30
	v_sub_f32_e32 v29, v23, v22
	v_mov_b32_e32 v31, v22
	v_pk_add_f32 v[22:23], v[22:23], v[28:29] neg_lo:[0,1] neg_hi:[0,1]
	v_pk_add_f32 v[22:23], v[22:23], v[30:31] neg_lo:[0,1] neg_hi:[0,1]
	v_add_f32_e32 v22, v22, v23
	v_add_f32_e32 v22, v29, v22
	v_mul_f32_e32 v23, v32, v22
	v_add_f32_e32 v22, v33, v23
	v_sub_f32_e32 v28, v22, v33
	v_mul_f32_e32 v29, v22, v22
	v_sub_f32_e32 v39, v23, v28
	v_fma_f32 v23, v22, v22, -v29
	v_add_f32_e32 v28, v39, v39
	v_fmac_f32_e32 v23, v22, v28
	v_add_f32_e32 v28, v29, v23
	v_fmac_f32_e32 v25, 0x3e76c4e1, v28
	v_sub_f32_e32 v29, v28, v29
	v_fma_f32 v25, v28, v25, v14
	v_sub_f32_e32 v41, v23, v29
	v_mul_f32_e32 v23, v28, v25
	v_fma_f32 v29, v28, v25, -v23
	v_fmac_f32_e32 v29, v41, v25
	v_add_f32_e32 v25, v23, v29
	v_add_f32_e32 v31, 0x3f2aaaaa, v25
	v_sub_f32_e32 v23, v25, v23
	v_sub_f32_e32 v23, v29, v23
	v_add_f32_e32 v29, 0xbf2aaaaa, v31
	v_add_f32_e32 v23, 0x31739010, v23
	v_sub_f32_e32 v29, v25, v29
	v_pk_mul_f32 v[32:33], v[22:23], v[28:29]
	v_fma_f32 v30, v28, v22, -v32
	v_pk_add_f32 v[34:35], v[22:23], v[28:29]
	v_fmac_f32_e32 v30, v28, v39
	v_mov_b32_e32 v33, v35
	v_fmac_f32_e32 v30, v41, v22
	v_ldexp_f32 v27, v22, 1
	v_pk_add_f32 v[22:23], v[32:33], v[30:31]
	v_sub_f32_e32 v29, v31, v23
	v_mov_b32_e32 v28, v23
	v_sub_f32_e32 v25, v22, v32
	v_add_f32_e32 v31, v35, v29
	v_pk_mul_f32 v[28:29], v[22:23], v[28:29]
	v_sub_f32_e32 v25, v30, v25
	v_fma_f32 v30, v22, v23, -v28
	v_fmac_f32_e32 v30, v22, v31
	v_fmac_f32_e32 v30, v25, v23
	v_add_f32_e32 v25, v28, v30
	v_pk_add_f32 v[22:23], v[24:25], v[26:27]
	v_mov_b32_e32 v29, v27
	v_mov_b32_e32 v32, v25
	;; [unrolled: 1-line block ×4, first 2 shown]
	v_pk_add_f32 v[28:29], v[32:33], v[28:29] neg_lo:[0,1] neg_hi:[0,1]
	v_ldexp_f32 v40, v39, 1
	v_pk_add_f32 v[28:29], v[30:31], v[28:29] neg_lo:[0,1] neg_hi:[0,1]
	v_add_f32_e32 v25, v40, v28
	v_add_f32_e32 v25, v25, v29
	v_pk_add_f32 v[28:29], v[22:23], v[24:25] neg_lo:[0,1] neg_hi:[0,1]
	v_pk_add_f32 v[30:31], v[22:23], v[24:25]
	v_mov_b32_e32 v27, v22
	v_mov_b32_e32 v32, v28
	;; [unrolled: 1-line block ×3, first 2 shown]
	v_pk_add_f32 v[32:33], v[26:27], v[32:33]
	v_mov_b32_e32 v24, v33
	v_mov_b32_e32 v34, v23
	v_pk_add_f32 v[22:23], v[24:25], v[22:23] neg_lo:[0,1] neg_hi:[0,1]
	v_mov_b32_e32 v32, v31
	v_mov_b32_e32 v23, v22
	;; [unrolled: 1-line block ×3, first 2 shown]
	v_pk_add_f32 v[28:29], v[26:27], v[28:29] neg_lo:[0,1] neg_hi:[0,1]
	v_mov_b32_e32 v26, v25
	v_pk_add_f32 v[22:23], v[30:31], v[22:23] neg_lo:[0,1] neg_hi:[0,1]
	v_pk_add_f32 v[30:31], v[32:33], v[34:35] neg_lo:[0,1] neg_hi:[0,1]
	;; [unrolled: 1-line block ×3, first 2 shown]
	v_mov_b32_e32 v22, v28
	v_pk_add_f32 v[22:23], v[22:23], v[26:27]
	v_mov_b32_e32 v30, v23
	v_pk_add_f32 v[30:31], v[22:23], v[30:31]
	v_pk_add_f32 v[24:25], v[24:25], v[30:31]
	v_mov_b32_e32 v29, v33
	v_mov_b32_e32 v23, v24
	;; [unrolled: 1-line block ×3, first 2 shown]
	v_pk_add_f32 v[30:31], v[22:23], v[28:29] neg_lo:[0,1] neg_hi:[0,1]
	v_sub_f32_e32 v22, v22, v30
	v_pk_add_f32 v[26:27], v[26:27], v[30:31] neg_lo:[0,1] neg_hi:[0,1]
	v_sub_f32_e32 v22, v28, v22
	v_add_f32_e32 v22, v26, v22
	v_add_f32_e32 v22, v22, v27
	;; [unrolled: 1-line block ×3, first 2 shown]
	v_sub_f32_e32 v24, v23, v24
	v_mul_f32_e32 v25, v20, v23
	v_sub_f32_e32 v22, v22, v24
	v_fma_f32 v23, v20, v23, -v25
	v_fmac_f32_e32 v23, v20, v22
	v_add_f32_e32 v22, v25, v23
	v_cmp_class_f32_e64 s[4:5], v25, s20
	v_sub_f32_e32 v24, v22, v25
	v_cndmask_b32_e64 v22, v22, v25, s[4:5]
	v_cmp_eq_f32_e64 s[4:5], s22, v22
	v_sub_f32_e32 v23, v23, v24
	v_cndmask_b32_e64 v24, 0, v15, s[4:5]
	v_sub_f32_e32 v25, v22, v24
	v_mul_f32_e32 v26, 0x3fb8aa3b, v25
	v_fma_f32 v27, v25, s23, -v26
	v_rndne_f32_e32 v28, v26
	v_fmac_f32_e32 v27, 0x32a5705f, v25
	v_sub_f32_e32 v26, v26, v28
	v_add_f32_e32 v26, v26, v27
	v_cvt_i32_f32_e32 v28, v28
	v_exp_f32_e32 v26, v26
	v_cmp_neq_f32_e64 s[4:5], |v22|, s21
	v_cndmask_b32_e64 v22, 0, v23, s[4:5]
	v_cmp_ngt_f32_e64 s[4:5], s24, v25
	v_ldexp_f32 v23, v26, v28
	v_cndmask_b32_e64 v23, 0, v23, s[4:5]
	v_cmp_nlt_f32_e64 s[4:5], s22, v25
	v_add_f32_e32 v22, v24, v22
	v_cndmask_b32_e64 v23, v16, v23, s[4:5]
	v_fma_f32 v22, v23, v22, v23
	v_cmp_class_f32_e64 s[4:5], v23, s20
	v_cmp_eq_f32_e32 vcc, s21, v21
	v_cndmask_b32_e64 v22, v22, v23, s[4:5]
	v_cmp_eq_f32_e64 s[4:5], s21, v36
	v_cndmask_b32_e64 v22, |v22|, v38, s[4:5]
	s_or_b64 vcc, vcc, s[2:3]
	v_cndmask_b32_e32 v22, v22, v37, vcc
	v_cmp_o_f32_e32 vcc, v21, v20
	v_cndmask_b32_e32 v20, v17, v22, vcc
	v_mul_f32_e32 v19, v19, v20
	v_mul_f32_e32 v19, v7, v19
	v_div_scale_f32 v20, s[2:3], v18, v18, v19
	v_rcp_f32_e32 v21, v20
	v_div_scale_f32 v22, vcc, v19, v18, v19
	v_fma_f32 v23, -v20, v21, 1.0
	v_fmac_f32_e32 v21, v23, v21
	v_mul_f32_e32 v23, v22, v21
	v_fma_f32 v24, -v20, v23, v22
	v_fmac_f32_e32 v23, v24, v21
	v_fma_f32 v20, -v20, v23, v22
	v_div_fmas_f32 v20, v20, v21, v23
	v_div_fixup_f32 v19, v20, v18, v19
	s_branch .LBB35_11
.LBB35_14:
	s_endpgm
	.section	.rodata,"a",@progbits
	.p2align	6, 0x0
	.amdhsa_kernel _ZN2at6native12_GLOBAL__N_131cdist_backward_kernel_cuda_implIfNS1_5distsIfE1pEEEvPT_PKS6_S9_S9_S9_S6_lllllll
		.amdhsa_group_segment_fixed_size 0
		.amdhsa_private_segment_fixed_size 0
		.amdhsa_kernarg_size 360
		.amdhsa_user_sgpr_count 6
		.amdhsa_user_sgpr_private_segment_buffer 1
		.amdhsa_user_sgpr_dispatch_ptr 0
		.amdhsa_user_sgpr_queue_ptr 0
		.amdhsa_user_sgpr_kernarg_segment_ptr 1
		.amdhsa_user_sgpr_dispatch_id 0
		.amdhsa_user_sgpr_flat_scratch_init 0
		.amdhsa_user_sgpr_kernarg_preload_length 0
		.amdhsa_user_sgpr_kernarg_preload_offset 0
		.amdhsa_user_sgpr_private_segment_size 0
		.amdhsa_uses_dynamic_stack 0
		.amdhsa_system_sgpr_private_segment_wavefront_offset 0
		.amdhsa_system_sgpr_workgroup_id_x 1
		.amdhsa_system_sgpr_workgroup_id_y 1
		.amdhsa_system_sgpr_workgroup_id_z 1
		.amdhsa_system_sgpr_workgroup_info 0
		.amdhsa_system_vgpr_workitem_id 1
		.amdhsa_next_free_vgpr 42
		.amdhsa_next_free_sgpr 44
		.amdhsa_accum_offset 44
		.amdhsa_reserve_vcc 1
		.amdhsa_reserve_flat_scratch 0
		.amdhsa_float_round_mode_32 0
		.amdhsa_float_round_mode_16_64 0
		.amdhsa_float_denorm_mode_32 3
		.amdhsa_float_denorm_mode_16_64 3
		.amdhsa_dx10_clamp 1
		.amdhsa_ieee_mode 1
		.amdhsa_fp16_overflow 0
		.amdhsa_tg_split 0
		.amdhsa_exception_fp_ieee_invalid_op 0
		.amdhsa_exception_fp_denorm_src 0
		.amdhsa_exception_fp_ieee_div_zero 0
		.amdhsa_exception_fp_ieee_overflow 0
		.amdhsa_exception_fp_ieee_underflow 0
		.amdhsa_exception_fp_ieee_inexact 0
		.amdhsa_exception_int_div_zero 0
	.end_amdhsa_kernel
	.section	.text._ZN2at6native12_GLOBAL__N_131cdist_backward_kernel_cuda_implIfNS1_5distsIfE1pEEEvPT_PKS6_S9_S9_S9_S6_lllllll,"axG",@progbits,_ZN2at6native12_GLOBAL__N_131cdist_backward_kernel_cuda_implIfNS1_5distsIfE1pEEEvPT_PKS6_S9_S9_S9_S6_lllllll,comdat
.Lfunc_end35:
	.size	_ZN2at6native12_GLOBAL__N_131cdist_backward_kernel_cuda_implIfNS1_5distsIfE1pEEEvPT_PKS6_S9_S9_S9_S6_lllllll, .Lfunc_end35-_ZN2at6native12_GLOBAL__N_131cdist_backward_kernel_cuda_implIfNS1_5distsIfE1pEEEvPT_PKS6_S9_S9_S9_S6_lllllll
                                        ; -- End function
	.section	.AMDGPU.csdata,"",@progbits
; Kernel info:
; codeLenInByte = 4560
; NumSgprs: 48
; NumVgprs: 42
; NumAgprs: 0
; TotalNumVgprs: 42
; ScratchSize: 0
; MemoryBound: 0
; FloatMode: 240
; IeeeMode: 1
; LDSByteSize: 0 bytes/workgroup (compile time only)
; SGPRBlocks: 5
; VGPRBlocks: 5
; NumSGPRsForWavesPerEU: 48
; NumVGPRsForWavesPerEU: 42
; AccumOffset: 44
; Occupancy: 8
; WaveLimiterHint : 0
; COMPUTE_PGM_RSRC2:SCRATCH_EN: 0
; COMPUTE_PGM_RSRC2:USER_SGPR: 6
; COMPUTE_PGM_RSRC2:TRAP_HANDLER: 0
; COMPUTE_PGM_RSRC2:TGID_X_EN: 1
; COMPUTE_PGM_RSRC2:TGID_Y_EN: 1
; COMPUTE_PGM_RSRC2:TGID_Z_EN: 1
; COMPUTE_PGM_RSRC2:TIDIG_COMP_CNT: 1
; COMPUTE_PGM_RSRC3_GFX90A:ACCUM_OFFSET: 10
; COMPUTE_PGM_RSRC3_GFX90A:TG_SPLIT: 0
	.section	.text._ZN2at6native12_GLOBAL__N_131cdist_backward_kernel_cuda_implIfNS1_5distsIfE3oneEEEvPT_PKS6_S9_S9_S9_S6_lllllll,"axG",@progbits,_ZN2at6native12_GLOBAL__N_131cdist_backward_kernel_cuda_implIfNS1_5distsIfE3oneEEEvPT_PKS6_S9_S9_S9_S6_lllllll,comdat
	.globl	_ZN2at6native12_GLOBAL__N_131cdist_backward_kernel_cuda_implIfNS1_5distsIfE3oneEEEvPT_PKS6_S9_S9_S9_S6_lllllll ; -- Begin function _ZN2at6native12_GLOBAL__N_131cdist_backward_kernel_cuda_implIfNS1_5distsIfE3oneEEEvPT_PKS6_S9_S9_S9_S6_lllllll
	.p2align	8
	.type	_ZN2at6native12_GLOBAL__N_131cdist_backward_kernel_cuda_implIfNS1_5distsIfE3oneEEEvPT_PKS6_S9_S9_S9_S6_lllllll,@function
_ZN2at6native12_GLOBAL__N_131cdist_backward_kernel_cuda_implIfNS1_5distsIfE3oneEEEvPT_PKS6_S9_S9_S9_S6_lllllll: ; @_ZN2at6native12_GLOBAL__N_131cdist_backward_kernel_cuda_implIfNS1_5distsIfE3oneEEEvPT_PKS6_S9_S9_S9_S6_lllllll
; %bb.0:
	s_load_dwordx2 s[0:1], s[4:5], 0x70
	s_load_dwordx8 s[12:19], s[4:5], 0x30
	s_add_u32 s2, s4, 0x68
	s_addc_u32 s3, s5, 0
	v_bfe_u32 v1, v0, 10, 10
	s_waitcnt lgkmcnt(0)
	s_mul_i32 s0, s0, s7
	s_add_i32 s0, s0, s8
	s_lshr_b32 s7, s1, 16
	s_mul_i32 s0, s0, s7
	v_add_u32_e32 v2, s0, v1
	v_ashrrev_i32_e32 v3, 31, v2
	v_cmp_gt_i64_e32 vcc, s[18:19], v[2:3]
	s_and_saveexec_b64 s[8:9], vcc
	s_cbranch_execz .LBB36_12
; %bb.1:
	s_load_dwordx8 s[20:27], s[4:5], 0x50
	s_and_b32 s18, s1, 0xffff
	s_mul_i32 s6, s6, s18
	v_and_b32_e32 v0, 0x3ff, v0
	v_add_u32_e32 v0, s6, v0
	v_ashrrev_i32_e32 v1, 31, v0
	v_cmp_gt_i64_e32 vcc, s[16:17], v[0:1]
	s_and_b64 exec, exec, vcc
	s_cbranch_execz .LBB36_12
; %bb.2:
	s_waitcnt lgkmcnt(0)
	v_or_b32_e32 v5, s21, v3
	v_mov_b32_e32 v4, 0
	v_cmp_ne_u64_e32 vcc, 0, v[4:5]
                                        ; implicit-def: $vgpr4_vgpr5
	s_and_saveexec_b64 s[0:1], vcc
	s_xor_b64 s[6:7], exec, s[0:1]
	s_cbranch_execz .LBB36_4
; %bb.3:
	s_ashr_i32 s8, s21, 31
	s_add_u32 s0, s20, s8
	s_mov_b32 s9, s8
	s_addc_u32 s1, s21, s8
	s_xor_b64 s[10:11], s[0:1], s[8:9]
	v_cvt_f32_u32_e32 v4, s10
	v_cvt_f32_u32_e32 v5, s11
	s_sub_u32 s0, 0, s10
	s_subb_u32 s1, 0, s11
	v_madmk_f32 v4, v5, 0x4f800000, v4
	v_rcp_f32_e32 v4, v4
	v_mul_f32_e32 v4, 0x5f7ffffc, v4
	v_mul_f32_e32 v5, 0x2f800000, v4
	v_trunc_f32_e32 v5, v5
	v_madmk_f32 v4, v5, 0xcf800000, v4
	v_cvt_u32_f32_e32 v5, v5
	v_cvt_u32_f32_e32 v4, v4
	v_mul_lo_u32 v6, s0, v5
	v_mul_hi_u32 v8, s0, v4
	v_mul_lo_u32 v7, s1, v4
	v_add_u32_e32 v6, v8, v6
	v_mul_lo_u32 v9, s0, v4
	v_add_u32_e32 v6, v6, v7
	v_mul_lo_u32 v8, v4, v6
	v_mul_hi_u32 v10, v4, v9
	v_mul_hi_u32 v7, v4, v6
	v_add_co_u32_e32 v8, vcc, v10, v8
	v_addc_co_u32_e32 v7, vcc, 0, v7, vcc
	v_mul_hi_u32 v11, v5, v9
	v_mul_lo_u32 v9, v5, v9
	v_add_co_u32_e32 v8, vcc, v8, v9
	v_mul_hi_u32 v10, v5, v6
	v_addc_co_u32_e32 v7, vcc, v7, v11, vcc
	v_addc_co_u32_e32 v8, vcc, 0, v10, vcc
	v_mul_lo_u32 v6, v5, v6
	v_add_co_u32_e32 v6, vcc, v7, v6
	v_addc_co_u32_e32 v7, vcc, 0, v8, vcc
	v_add_co_u32_e32 v4, vcc, v4, v6
	v_addc_co_u32_e32 v5, vcc, v5, v7, vcc
	v_mul_lo_u32 v6, s0, v5
	v_mul_hi_u32 v7, s0, v4
	v_add_u32_e32 v6, v7, v6
	v_mul_lo_u32 v7, s1, v4
	v_add_u32_e32 v6, v6, v7
	v_mul_lo_u32 v8, s0, v4
	v_mul_hi_u32 v9, v5, v8
	v_mul_lo_u32 v10, v5, v8
	v_mul_lo_u32 v12, v4, v6
	v_mul_hi_u32 v8, v4, v8
	v_mul_hi_u32 v11, v4, v6
	v_add_co_u32_e32 v8, vcc, v8, v12
	v_addc_co_u32_e32 v11, vcc, 0, v11, vcc
	v_add_co_u32_e32 v8, vcc, v8, v10
	v_mul_hi_u32 v7, v5, v6
	v_addc_co_u32_e32 v8, vcc, v11, v9, vcc
	v_addc_co_u32_e32 v7, vcc, 0, v7, vcc
	v_mul_lo_u32 v6, v5, v6
	v_add_co_u32_e32 v6, vcc, v8, v6
	v_addc_co_u32_e32 v7, vcc, 0, v7, vcc
	v_add_co_u32_e32 v6, vcc, v4, v6
	v_addc_co_u32_e32 v7, vcc, v5, v7, vcc
	v_ashrrev_i32_e32 v8, 31, v3
	v_add_co_u32_e32 v4, vcc, v2, v8
	v_addc_co_u32_e32 v5, vcc, v3, v8, vcc
	v_xor_b32_e32 v10, v4, v8
	v_xor_b32_e32 v9, v5, v8
	v_mad_u64_u32 v[4:5], s[0:1], v10, v7, 0
	v_mul_hi_u32 v11, v10, v6
	v_add_co_u32_e32 v11, vcc, v11, v4
	v_addc_co_u32_e32 v12, vcc, 0, v5, vcc
	v_mad_u64_u32 v[4:5], s[0:1], v9, v7, 0
	v_mad_u64_u32 v[6:7], s[0:1], v9, v6, 0
	v_add_co_u32_e32 v6, vcc, v11, v6
	v_addc_co_u32_e32 v6, vcc, v12, v7, vcc
	v_addc_co_u32_e32 v5, vcc, 0, v5, vcc
	v_add_co_u32_e32 v6, vcc, v6, v4
	v_addc_co_u32_e32 v7, vcc, 0, v5, vcc
	v_mul_lo_u32 v11, s11, v6
	v_mul_lo_u32 v12, s10, v7
	v_mad_u64_u32 v[4:5], s[0:1], s10, v6, 0
	v_add3_u32 v5, v5, v12, v11
	v_sub_u32_e32 v11, v9, v5
	v_mov_b32_e32 v12, s11
	v_sub_co_u32_e32 v4, vcc, v10, v4
	v_subb_co_u32_e64 v10, s[0:1], v11, v12, vcc
	v_subrev_co_u32_e64 v11, s[0:1], s10, v4
	v_subbrev_co_u32_e64 v10, s[0:1], 0, v10, s[0:1]
	v_cmp_le_u32_e64 s[0:1], s11, v10
	v_cndmask_b32_e64 v12, 0, -1, s[0:1]
	v_cmp_le_u32_e64 s[0:1], s10, v11
	v_cndmask_b32_e64 v11, 0, -1, s[0:1]
	v_cmp_eq_u32_e64 s[0:1], s11, v10
	v_cndmask_b32_e64 v10, v12, v11, s[0:1]
	v_add_co_u32_e64 v11, s[0:1], 2, v6
	v_subb_co_u32_e32 v5, vcc, v9, v5, vcc
	v_addc_co_u32_e64 v12, s[0:1], 0, v7, s[0:1]
	v_cmp_le_u32_e32 vcc, s11, v5
	v_add_co_u32_e64 v13, s[0:1], 1, v6
	v_cndmask_b32_e64 v9, 0, -1, vcc
	v_cmp_le_u32_e32 vcc, s10, v4
	v_addc_co_u32_e64 v14, s[0:1], 0, v7, s[0:1]
	v_cndmask_b32_e64 v4, 0, -1, vcc
	v_cmp_eq_u32_e32 vcc, s11, v5
	v_cmp_ne_u32_e64 s[0:1], 0, v10
	v_cndmask_b32_e32 v4, v9, v4, vcc
	v_cndmask_b32_e64 v10, v14, v12, s[0:1]
	v_cmp_ne_u32_e32 vcc, 0, v4
	v_cndmask_b32_e64 v5, v13, v11, s[0:1]
	v_cndmask_b32_e32 v4, v7, v10, vcc
	v_cndmask_b32_e32 v5, v6, v5, vcc
	v_xor_b32_e32 v6, s8, v8
	v_xor_b32_e32 v7, v4, v6
	;; [unrolled: 1-line block ×3, first 2 shown]
	v_sub_co_u32_e32 v4, vcc, v4, v6
	v_subb_co_u32_e32 v5, vcc, v7, v6, vcc
.LBB36_4:
	s_andn2_saveexec_b64 s[0:1], s[6:7]
	s_cbranch_execz .LBB36_6
; %bb.5:
	v_cvt_f32_u32_e32 v4, s20
	s_sub_i32 s6, 0, s20
	v_rcp_iflag_f32_e32 v4, v4
	v_mul_f32_e32 v4, 0x4f7ffffe, v4
	v_cvt_u32_f32_e32 v4, v4
	v_mul_lo_u32 v5, s6, v4
	v_mul_hi_u32 v5, v4, v5
	v_add_u32_e32 v4, v4, v5
	v_mul_hi_u32 v4, v2, v4
	v_mul_lo_u32 v5, v4, s20
	v_sub_u32_e32 v5, v2, v5
	v_add_u32_e32 v6, 1, v4
	v_subrev_u32_e32 v7, s20, v5
	v_cmp_le_u32_e32 vcc, s20, v5
	v_cndmask_b32_e32 v5, v5, v7, vcc
	v_cndmask_b32_e32 v4, v4, v6, vcc
	v_add_u32_e32 v6, 1, v4
	v_cmp_le_u32_e32 vcc, s20, v5
	v_cndmask_b32_e32 v4, v4, v6, vcc
	v_mov_b32_e32 v5, 0
.LBB36_6:
	s_or_b64 exec, exec, s[0:1]
	v_mul_lo_u32 v5, v5, s20
	v_mul_lo_u32 v8, v4, s21
	v_mad_u64_u32 v[6:7], s[0:1], v4, s20, 0
	v_add3_u32 v7, v7, v8, v5
	v_sub_co_u32_e32 v5, vcc, v2, v6
	v_subb_co_u32_e32 v7, vcc, v3, v7, vcc
	v_or_b32_e32 v9, s15, v7
	v_mov_b32_e32 v8, 0
	v_cmp_ne_u64_e32 vcc, 0, v[8:9]
                                        ; implicit-def: $vgpr10_vgpr11
	s_and_saveexec_b64 s[0:1], vcc
	s_xor_b64 s[6:7], exec, s[0:1]
	s_cbranch_execz .LBB36_8
; %bb.7:
	s_ashr_i32 s8, s15, 31
	s_add_u32 s0, s14, s8
	s_mov_b32 s9, s8
	s_addc_u32 s1, s15, s8
	s_xor_b64 s[10:11], s[0:1], s[8:9]
	v_cvt_f32_u32_e32 v8, s10
	v_cvt_f32_u32_e32 v9, s11
	s_sub_u32 s0, 0, s10
	s_subb_u32 s1, 0, s11
	v_madmk_f32 v8, v9, 0x4f800000, v8
	v_rcp_f32_e32 v8, v8
	v_mul_f32_e32 v8, 0x5f7ffffc, v8
	v_mul_f32_e32 v9, 0x2f800000, v8
	v_trunc_f32_e32 v9, v9
	v_madmk_f32 v8, v9, 0xcf800000, v8
	v_cvt_u32_f32_e32 v9, v9
	v_cvt_u32_f32_e32 v8, v8
	v_mul_lo_u32 v10, s0, v9
	v_mul_hi_u32 v12, s0, v8
	v_mul_lo_u32 v11, s1, v8
	v_add_u32_e32 v10, v12, v10
	v_mul_lo_u32 v13, s0, v8
	v_add_u32_e32 v10, v10, v11
	v_mul_lo_u32 v12, v8, v10
	v_mul_hi_u32 v14, v8, v13
	v_mul_hi_u32 v11, v8, v10
	v_add_co_u32_e32 v12, vcc, v14, v12
	v_addc_co_u32_e32 v11, vcc, 0, v11, vcc
	v_mul_hi_u32 v15, v9, v13
	v_mul_lo_u32 v13, v9, v13
	v_add_co_u32_e32 v12, vcc, v12, v13
	v_mul_hi_u32 v14, v9, v10
	v_addc_co_u32_e32 v11, vcc, v11, v15, vcc
	v_addc_co_u32_e32 v12, vcc, 0, v14, vcc
	v_mul_lo_u32 v10, v9, v10
	v_add_co_u32_e32 v10, vcc, v11, v10
	v_addc_co_u32_e32 v11, vcc, 0, v12, vcc
	v_add_co_u32_e32 v8, vcc, v8, v10
	v_addc_co_u32_e32 v9, vcc, v9, v11, vcc
	v_mul_lo_u32 v10, s0, v9
	v_mul_hi_u32 v11, s0, v8
	v_add_u32_e32 v10, v11, v10
	v_mul_lo_u32 v11, s1, v8
	v_add_u32_e32 v10, v10, v11
	v_mul_lo_u32 v12, s0, v8
	v_mul_hi_u32 v13, v9, v12
	v_mul_lo_u32 v14, v9, v12
	v_mul_lo_u32 v16, v8, v10
	v_mul_hi_u32 v12, v8, v12
	v_mul_hi_u32 v15, v8, v10
	v_add_co_u32_e32 v12, vcc, v12, v16
	v_addc_co_u32_e32 v15, vcc, 0, v15, vcc
	v_add_co_u32_e32 v12, vcc, v12, v14
	v_mul_hi_u32 v11, v9, v10
	v_addc_co_u32_e32 v12, vcc, v15, v13, vcc
	v_addc_co_u32_e32 v11, vcc, 0, v11, vcc
	v_mul_lo_u32 v10, v9, v10
	v_add_co_u32_e32 v10, vcc, v12, v10
	v_addc_co_u32_e32 v11, vcc, 0, v11, vcc
	v_add_co_u32_e32 v10, vcc, v8, v10
	v_addc_co_u32_e32 v11, vcc, v9, v11, vcc
	v_ashrrev_i32_e32 v12, 31, v7
	v_add_co_u32_e32 v8, vcc, v5, v12
	v_addc_co_u32_e32 v9, vcc, v7, v12, vcc
	v_xor_b32_e32 v14, v8, v12
	v_xor_b32_e32 v13, v9, v12
	v_mad_u64_u32 v[8:9], s[0:1], v14, v11, 0
	v_mul_hi_u32 v15, v14, v10
	v_add_co_u32_e32 v15, vcc, v15, v8
	v_addc_co_u32_e32 v16, vcc, 0, v9, vcc
	v_mad_u64_u32 v[8:9], s[0:1], v13, v11, 0
	v_mad_u64_u32 v[10:11], s[0:1], v13, v10, 0
	v_add_co_u32_e32 v10, vcc, v15, v10
	v_addc_co_u32_e32 v10, vcc, v16, v11, vcc
	v_addc_co_u32_e32 v9, vcc, 0, v9, vcc
	v_add_co_u32_e32 v10, vcc, v10, v8
	v_addc_co_u32_e32 v11, vcc, 0, v9, vcc
	v_mul_lo_u32 v15, s11, v10
	v_mul_lo_u32 v16, s10, v11
	v_mad_u64_u32 v[8:9], s[0:1], s10, v10, 0
	v_add3_u32 v9, v9, v16, v15
	v_sub_u32_e32 v15, v13, v9
	v_mov_b32_e32 v16, s11
	v_sub_co_u32_e32 v8, vcc, v14, v8
	v_subb_co_u32_e64 v14, s[0:1], v15, v16, vcc
	v_subrev_co_u32_e64 v15, s[0:1], s10, v8
	v_subbrev_co_u32_e64 v14, s[0:1], 0, v14, s[0:1]
	v_cmp_le_u32_e64 s[0:1], s11, v14
	v_cndmask_b32_e64 v16, 0, -1, s[0:1]
	v_cmp_le_u32_e64 s[0:1], s10, v15
	v_cndmask_b32_e64 v15, 0, -1, s[0:1]
	v_cmp_eq_u32_e64 s[0:1], s11, v14
	v_cndmask_b32_e64 v14, v16, v15, s[0:1]
	v_add_co_u32_e64 v15, s[0:1], 2, v10
	v_subb_co_u32_e32 v9, vcc, v13, v9, vcc
	v_addc_co_u32_e64 v16, s[0:1], 0, v11, s[0:1]
	v_cmp_le_u32_e32 vcc, s11, v9
	v_add_co_u32_e64 v17, s[0:1], 1, v10
	v_cndmask_b32_e64 v13, 0, -1, vcc
	v_cmp_le_u32_e32 vcc, s10, v8
	v_addc_co_u32_e64 v18, s[0:1], 0, v11, s[0:1]
	v_cndmask_b32_e64 v8, 0, -1, vcc
	v_cmp_eq_u32_e32 vcc, s11, v9
	v_cmp_ne_u32_e64 s[0:1], 0, v14
	v_cndmask_b32_e32 v8, v13, v8, vcc
	v_cndmask_b32_e64 v14, v18, v16, s[0:1]
	v_cmp_ne_u32_e32 vcc, 0, v8
	v_cndmask_b32_e64 v9, v17, v15, s[0:1]
	v_cndmask_b32_e32 v8, v11, v14, vcc
	v_cndmask_b32_e32 v9, v10, v9, vcc
	v_xor_b32_e32 v11, s8, v12
	v_xor_b32_e32 v9, v9, v11
	;; [unrolled: 1-line block ×3, first 2 shown]
	v_sub_co_u32_e32 v10, vcc, v9, v11
	v_subb_co_u32_e32 v11, vcc, v8, v11, vcc
.LBB36_8:
	s_or_saveexec_b64 s[0:1], s[6:7]
	s_load_dword s8, s[2:3], 0x0
	s_xor_b64 exec, exec, s[0:1]
	s_cbranch_execz .LBB36_10
; %bb.9:
	v_cvt_f32_u32_e32 v8, s14
	s_sub_i32 s2, 0, s14
	v_rcp_iflag_f32_e32 v8, v8
	v_mul_f32_e32 v8, 0x4f7ffffe, v8
	v_cvt_u32_f32_e32 v8, v8
	v_mul_lo_u32 v9, s2, v8
	v_mul_hi_u32 v9, v8, v9
	v_add_u32_e32 v8, v8, v9
	v_mul_hi_u32 v8, v5, v8
	v_mul_lo_u32 v9, v8, s14
	v_sub_u32_e32 v9, v5, v9
	v_add_u32_e32 v10, 1, v8
	v_subrev_u32_e32 v11, s14, v9
	v_cmp_le_u32_e32 vcc, s14, v9
	v_cndmask_b32_e32 v9, v9, v11, vcc
	v_cndmask_b32_e32 v8, v8, v10, vcc
	v_add_u32_e32 v10, 1, v8
	v_cmp_le_u32_e32 vcc, s14, v9
	v_cndmask_b32_e32 v10, v8, v10, vcc
	v_mov_b32_e32 v11, 0
.LBB36_10:
	s_or_b64 exec, exec, s[0:1]
	s_load_dwordx8 s[0:7], s[4:5], 0x0
	v_lshlrev_b64 v[2:3], 2, v[2:3]
	v_ashrrev_i32_e32 v15, 31, v4
	v_mul_lo_u32 v9, v15, s22
	v_mul_lo_u32 v13, v11, s16
	s_waitcnt lgkmcnt(0)
	v_mov_b32_e32 v8, s3
	v_add_co_u32_e32 v2, vcc, s2, v2
	v_addc_co_u32_e32 v3, vcc, v8, v3, vcc
	global_load_dword v12, v[2:3], off
	v_mul_lo_u32 v8, v4, s23
	v_mad_u64_u32 v[2:3], s[2:3], v4, s22, 0
	v_add3_u32 v3, v3, v8, v9
	v_lshlrev_b64 v[2:3], 2, v[2:3]
	v_mov_b32_e32 v8, s5
	v_add_co_u32_e32 v9, vcc, s4, v2
	v_addc_co_u32_e32 v8, vcc, v8, v3, vcc
	v_mul_lo_u32 v14, v10, s17
	v_mad_u64_u32 v[2:3], s[2:3], v10, s16, 0
	v_add3_u32 v3, v3, v14, v13
	v_lshlrev_b64 v[2:3], 2, v[2:3]
	v_add_co_u32_e32 v13, vcc, v9, v2
	v_addc_co_u32_e32 v14, vcc, v8, v3, vcc
	s_lshl_b64 s[2:3], s[16:17], 2
	v_mov_b32_e32 v3, s3
	v_add_co_u32_e32 v2, vcc, s2, v13
	v_addc_co_u32_e32 v3, vcc, v14, v3, vcc
	v_lshlrev_b64 v[0:1], 2, v[0:1]
	v_add_co_u32_e32 v8, vcc, v13, v0
	v_mul_lo_u32 v17, s16, v6
	v_mov_b32_e32 v16, 0
	v_addc_co_u32_e32 v9, vcc, v14, v1, vcc
	v_ashrrev_i64 v[16:17], 30, v[16:17]
	v_mov_b32_e32 v6, s1
	v_add_co_u32_e32 v18, vcc, s0, v16
	v_addc_co_u32_e32 v19, vcc, v6, v17, vcc
	v_mul_lo_u32 v6, v11, s14
	v_mul_lo_u32 v20, v10, s15
	v_mad_u64_u32 v[16:17], s[0:1], v10, s14, 0
	v_add3_u32 v6, v17, v20, v6
	v_sub_co_u32_e32 v16, vcc, v5, v16
	v_subb_co_u32_e32 v17, vcc, v7, v6, vcc
	v_mul_lo_u32 v5, v16, s13
	v_mul_lo_u32 v20, v17, s12
	v_mad_u64_u32 v[6:7], s[0:1], v16, s12, v[10:11]
	v_add3_u32 v5, v20, v7, v5
	v_mul_lo_u32 v5, v5, s16
	v_mul_lo_u32 v10, v6, s17
	v_mad_u64_u32 v[6:7], s[0:1], v6, s16, 0
	v_add3_u32 v7, v7, v10, v5
	v_lshlrev_b64 v[6:7], 2, v[6:7]
	v_add_co_u32_e32 v5, vcc, v18, v6
	v_addc_co_u32_e32 v6, vcc, v19, v7, vcc
	v_mul_lo_u32 v7, v4, s25
	v_mul_lo_u32 v15, v15, s24
	v_mad_u64_u32 v[10:11], s[0:1], v4, s24, 0
	v_add3_u32 v11, v11, v7, v15
	v_lshlrev_b64 v[10:11], 2, v[10:11]
	v_mov_b32_e32 v4, s7
	v_add_co_u32_e32 v7, vcc, s6, v10
	v_addc_co_u32_e32 v15, vcc, v4, v11, vcc
	v_mul_lo_u32 v4, v17, s16
	v_mul_lo_u32 v17, v16, s17
	v_mad_u64_u32 v[10:11], s[0:1], v16, s16, 0
	v_add3_u32 v11, v11, v17, v4
	v_lshlrev_b64 v[10:11], 2, v[10:11]
	s_mul_i32 s0, s8, s18
	v_add_co_u32_e32 v4, vcc, v7, v10
	s_ashr_i32 s1, s0, 31
	v_addc_co_u32_e32 v7, vcc, v15, v11, vcc
	s_lshl_b64 s[2:3], s[0:1], 2
	s_mov_b64 s[4:5], 0
.LBB36_11:                              ; =>This Inner Loop Header: Depth=1
	v_add_co_u32_e32 v10, vcc, v4, v0
	v_addc_co_u32_e32 v11, vcc, v7, v1, vcc
	v_add_co_u32_e32 v16, vcc, v13, v0
	v_addc_co_u32_e32 v17, vcc, v14, v1, vcc
	global_load_dword v15, v[16:17], off
	global_load_dword v18, v[10:11], off
	v_mov_b32_e32 v16, s3
	v_add_co_u32_e64 v8, s[0:1], s2, v8
	v_addc_co_u32_e64 v9, s[0:1], v9, v16, s[0:1]
	v_add_co_u32_e32 v10, vcc, v5, v0
	v_addc_co_u32_e32 v11, vcc, v6, v1, vcc
	v_add_co_u32_e32 v0, vcc, s2, v0
	v_addc_co_u32_e32 v1, vcc, v1, v16, vcc
	v_cmp_ge_u64_e32 vcc, v[8:9], v[2:3]
	s_or_b64 s[4:5], vcc, s[4:5]
	s_waitcnt vmcnt(0)
	v_sub_f32_e32 v15, v15, v18
	v_cmp_lt_f32_e64 s[0:1], 0, v15
	v_cndmask_b32_e64 v17, 0, 1, s[0:1]
	v_cmp_gt_f32_e64 s[0:1], 0, v15
	v_subbrev_co_u32_e64 v15, s[0:1], 0, v17, s[0:1]
	v_cvt_f32_i32_e32 v15, v15
	v_mul_f32_e32 v15, v12, v15
	global_store_dword v[10:11], v15, off
	s_andn2_b64 exec, exec, s[4:5]
	s_cbranch_execnz .LBB36_11
.LBB36_12:
	s_endpgm
	.section	.rodata,"a",@progbits
	.p2align	6, 0x0
	.amdhsa_kernel _ZN2at6native12_GLOBAL__N_131cdist_backward_kernel_cuda_implIfNS1_5distsIfE3oneEEEvPT_PKS6_S9_S9_S9_S6_lllllll
		.amdhsa_group_segment_fixed_size 0
		.amdhsa_private_segment_fixed_size 0
		.amdhsa_kernarg_size 360
		.amdhsa_user_sgpr_count 6
		.amdhsa_user_sgpr_private_segment_buffer 1
		.amdhsa_user_sgpr_dispatch_ptr 0
		.amdhsa_user_sgpr_queue_ptr 0
		.amdhsa_user_sgpr_kernarg_segment_ptr 1
		.amdhsa_user_sgpr_dispatch_id 0
		.amdhsa_user_sgpr_flat_scratch_init 0
		.amdhsa_user_sgpr_kernarg_preload_length 0
		.amdhsa_user_sgpr_kernarg_preload_offset 0
		.amdhsa_user_sgpr_private_segment_size 0
		.amdhsa_uses_dynamic_stack 0
		.amdhsa_system_sgpr_private_segment_wavefront_offset 0
		.amdhsa_system_sgpr_workgroup_id_x 1
		.amdhsa_system_sgpr_workgroup_id_y 1
		.amdhsa_system_sgpr_workgroup_id_z 1
		.amdhsa_system_sgpr_workgroup_info 0
		.amdhsa_system_vgpr_workitem_id 1
		.amdhsa_next_free_vgpr 21
		.amdhsa_next_free_sgpr 28
		.amdhsa_accum_offset 24
		.amdhsa_reserve_vcc 1
		.amdhsa_reserve_flat_scratch 0
		.amdhsa_float_round_mode_32 0
		.amdhsa_float_round_mode_16_64 0
		.amdhsa_float_denorm_mode_32 3
		.amdhsa_float_denorm_mode_16_64 3
		.amdhsa_dx10_clamp 1
		.amdhsa_ieee_mode 1
		.amdhsa_fp16_overflow 0
		.amdhsa_tg_split 0
		.amdhsa_exception_fp_ieee_invalid_op 0
		.amdhsa_exception_fp_denorm_src 0
		.amdhsa_exception_fp_ieee_div_zero 0
		.amdhsa_exception_fp_ieee_overflow 0
		.amdhsa_exception_fp_ieee_underflow 0
		.amdhsa_exception_fp_ieee_inexact 0
		.amdhsa_exception_int_div_zero 0
	.end_amdhsa_kernel
	.section	.text._ZN2at6native12_GLOBAL__N_131cdist_backward_kernel_cuda_implIfNS1_5distsIfE3oneEEEvPT_PKS6_S9_S9_S9_S6_lllllll,"axG",@progbits,_ZN2at6native12_GLOBAL__N_131cdist_backward_kernel_cuda_implIfNS1_5distsIfE3oneEEEvPT_PKS6_S9_S9_S9_S6_lllllll,comdat
.Lfunc_end36:
	.size	_ZN2at6native12_GLOBAL__N_131cdist_backward_kernel_cuda_implIfNS1_5distsIfE3oneEEEvPT_PKS6_S9_S9_S9_S6_lllllll, .Lfunc_end36-_ZN2at6native12_GLOBAL__N_131cdist_backward_kernel_cuda_implIfNS1_5distsIfE3oneEEEvPT_PKS6_S9_S9_S9_S6_lllllll
                                        ; -- End function
	.section	.AMDGPU.csdata,"",@progbits
; Kernel info:
; codeLenInByte = 2392
; NumSgprs: 32
; NumVgprs: 21
; NumAgprs: 0
; TotalNumVgprs: 21
; ScratchSize: 0
; MemoryBound: 0
; FloatMode: 240
; IeeeMode: 1
; LDSByteSize: 0 bytes/workgroup (compile time only)
; SGPRBlocks: 3
; VGPRBlocks: 2
; NumSGPRsForWavesPerEU: 32
; NumVGPRsForWavesPerEU: 21
; AccumOffset: 24
; Occupancy: 8
; WaveLimiterHint : 0
; COMPUTE_PGM_RSRC2:SCRATCH_EN: 0
; COMPUTE_PGM_RSRC2:USER_SGPR: 6
; COMPUTE_PGM_RSRC2:TRAP_HANDLER: 0
; COMPUTE_PGM_RSRC2:TGID_X_EN: 1
; COMPUTE_PGM_RSRC2:TGID_Y_EN: 1
; COMPUTE_PGM_RSRC2:TGID_Z_EN: 1
; COMPUTE_PGM_RSRC2:TIDIG_COMP_CNT: 1
; COMPUTE_PGM_RSRC3_GFX90A:ACCUM_OFFSET: 5
; COMPUTE_PGM_RSRC3_GFX90A:TG_SPLIT: 0
	.section	.text._ZN2at6native12_GLOBAL__N_131cdist_backward_kernel_cuda_implIfNS1_5distsIfE6lt_twoEEEvPT_PKS6_S9_S9_S9_S6_lllllll,"axG",@progbits,_ZN2at6native12_GLOBAL__N_131cdist_backward_kernel_cuda_implIfNS1_5distsIfE6lt_twoEEEvPT_PKS6_S9_S9_S9_S6_lllllll,comdat
	.globl	_ZN2at6native12_GLOBAL__N_131cdist_backward_kernel_cuda_implIfNS1_5distsIfE6lt_twoEEEvPT_PKS6_S9_S9_S9_S6_lllllll ; -- Begin function _ZN2at6native12_GLOBAL__N_131cdist_backward_kernel_cuda_implIfNS1_5distsIfE6lt_twoEEEvPT_PKS6_S9_S9_S9_S6_lllllll
	.p2align	8
	.type	_ZN2at6native12_GLOBAL__N_131cdist_backward_kernel_cuda_implIfNS1_5distsIfE6lt_twoEEEvPT_PKS6_S9_S9_S9_S6_lllllll,@function
_ZN2at6native12_GLOBAL__N_131cdist_backward_kernel_cuda_implIfNS1_5distsIfE6lt_twoEEEvPT_PKS6_S9_S9_S9_S6_lllllll: ; @_ZN2at6native12_GLOBAL__N_131cdist_backward_kernel_cuda_implIfNS1_5distsIfE6lt_twoEEEvPT_PKS6_S9_S9_S9_S6_lllllll
; %bb.0:
	s_load_dwordx2 s[0:1], s[4:5], 0x70
	s_load_dwordx8 s[12:19], s[4:5], 0x30
	s_add_u32 s2, s4, 0x68
	s_addc_u32 s3, s5, 0
	v_bfe_u32 v1, v0, 10, 10
	s_waitcnt lgkmcnt(0)
	s_mul_i32 s0, s0, s7
	s_add_i32 s0, s0, s8
	s_lshr_b32 s7, s1, 16
	s_mul_i32 s0, s0, s7
	v_add_u32_e32 v4, s0, v1
	v_ashrrev_i32_e32 v5, 31, v4
	v_cmp_gt_i64_e32 vcc, s[18:19], v[4:5]
	s_and_saveexec_b64 s[8:9], vcc
	s_cbranch_execz .LBB37_14
; %bb.1:
	s_load_dwordx8 s[20:27], s[4:5], 0x50
	s_and_b32 s18, s1, 0xffff
	s_mul_i32 s6, s6, s18
	v_and_b32_e32 v0, 0x3ff, v0
	v_add_u32_e32 v2, s6, v0
	v_ashrrev_i32_e32 v3, 31, v2
	v_cmp_gt_i64_e32 vcc, s[16:17], v[2:3]
	s_and_b64 exec, exec, vcc
	s_cbranch_execz .LBB37_14
; %bb.2:
	s_waitcnt lgkmcnt(0)
	v_or_b32_e32 v1, s21, v5
	v_mov_b32_e32 v0, 0
	v_cmp_ne_u64_e32 vcc, 0, v[0:1]
                                        ; implicit-def: $vgpr6_vgpr7
	s_and_saveexec_b64 s[0:1], vcc
	s_xor_b64 s[6:7], exec, s[0:1]
	s_cbranch_execz .LBB37_4
; %bb.3:
	s_ashr_i32 s8, s21, 31
	s_add_u32 s0, s20, s8
	s_mov_b32 s9, s8
	s_addc_u32 s1, s21, s8
	s_xor_b64 s[10:11], s[0:1], s[8:9]
	v_cvt_f32_u32_e32 v0, s10
	v_cvt_f32_u32_e32 v1, s11
	s_sub_u32 s0, 0, s10
	s_subb_u32 s1, 0, s11
	v_madmk_f32 v0, v1, 0x4f800000, v0
	v_rcp_f32_e32 v0, v0
	v_mul_f32_e32 v0, 0x5f7ffffc, v0
	v_mul_f32_e32 v1, 0x2f800000, v0
	v_trunc_f32_e32 v1, v1
	v_madmk_f32 v0, v1, 0xcf800000, v0
	v_cvt_u32_f32_e32 v1, v1
	v_cvt_u32_f32_e32 v0, v0
	v_mul_lo_u32 v6, s0, v1
	v_mul_hi_u32 v8, s0, v0
	v_mul_lo_u32 v7, s1, v0
	v_add_u32_e32 v6, v8, v6
	v_mul_lo_u32 v9, s0, v0
	v_add_u32_e32 v6, v6, v7
	v_mul_lo_u32 v8, v0, v6
	v_mul_hi_u32 v10, v0, v9
	v_mul_hi_u32 v7, v0, v6
	v_add_co_u32_e32 v8, vcc, v10, v8
	v_addc_co_u32_e32 v7, vcc, 0, v7, vcc
	v_mul_hi_u32 v11, v1, v9
	v_mul_lo_u32 v9, v1, v9
	v_add_co_u32_e32 v8, vcc, v8, v9
	v_mul_hi_u32 v10, v1, v6
	v_addc_co_u32_e32 v7, vcc, v7, v11, vcc
	v_addc_co_u32_e32 v8, vcc, 0, v10, vcc
	v_mul_lo_u32 v6, v1, v6
	v_add_co_u32_e32 v6, vcc, v7, v6
	v_addc_co_u32_e32 v7, vcc, 0, v8, vcc
	v_add_co_u32_e32 v0, vcc, v0, v6
	v_addc_co_u32_e32 v1, vcc, v1, v7, vcc
	v_mul_lo_u32 v6, s0, v1
	v_mul_hi_u32 v7, s0, v0
	v_add_u32_e32 v6, v7, v6
	v_mul_lo_u32 v7, s1, v0
	v_add_u32_e32 v6, v6, v7
	v_mul_lo_u32 v8, s0, v0
	v_mul_hi_u32 v9, v1, v8
	v_mul_lo_u32 v10, v1, v8
	v_mul_lo_u32 v12, v0, v6
	v_mul_hi_u32 v8, v0, v8
	v_mul_hi_u32 v11, v0, v6
	v_add_co_u32_e32 v8, vcc, v8, v12
	v_addc_co_u32_e32 v11, vcc, 0, v11, vcc
	v_add_co_u32_e32 v8, vcc, v8, v10
	v_mul_hi_u32 v7, v1, v6
	v_addc_co_u32_e32 v8, vcc, v11, v9, vcc
	v_addc_co_u32_e32 v7, vcc, 0, v7, vcc
	v_mul_lo_u32 v6, v1, v6
	v_add_co_u32_e32 v6, vcc, v8, v6
	v_addc_co_u32_e32 v7, vcc, 0, v7, vcc
	v_add_co_u32_e32 v6, vcc, v0, v6
	v_addc_co_u32_e32 v7, vcc, v1, v7, vcc
	v_ashrrev_i32_e32 v8, 31, v5
	v_add_co_u32_e32 v0, vcc, v4, v8
	v_addc_co_u32_e32 v1, vcc, v5, v8, vcc
	v_xor_b32_e32 v10, v0, v8
	v_xor_b32_e32 v9, v1, v8
	v_mad_u64_u32 v[0:1], s[0:1], v10, v7, 0
	v_mul_hi_u32 v11, v10, v6
	v_add_co_u32_e32 v11, vcc, v11, v0
	v_addc_co_u32_e32 v12, vcc, 0, v1, vcc
	v_mad_u64_u32 v[0:1], s[0:1], v9, v7, 0
	v_mad_u64_u32 v[6:7], s[0:1], v9, v6, 0
	v_add_co_u32_e32 v6, vcc, v11, v6
	v_addc_co_u32_e32 v6, vcc, v12, v7, vcc
	v_addc_co_u32_e32 v1, vcc, 0, v1, vcc
	v_add_co_u32_e32 v6, vcc, v6, v0
	v_addc_co_u32_e32 v7, vcc, 0, v1, vcc
	v_mul_lo_u32 v11, s11, v6
	v_mul_lo_u32 v12, s10, v7
	v_mad_u64_u32 v[0:1], s[0:1], s10, v6, 0
	v_add3_u32 v1, v1, v12, v11
	v_sub_u32_e32 v11, v9, v1
	v_mov_b32_e32 v12, s11
	v_sub_co_u32_e32 v0, vcc, v10, v0
	v_subb_co_u32_e64 v10, s[0:1], v11, v12, vcc
	v_subrev_co_u32_e64 v11, s[0:1], s10, v0
	v_subbrev_co_u32_e64 v10, s[0:1], 0, v10, s[0:1]
	v_cmp_le_u32_e64 s[0:1], s11, v10
	v_cndmask_b32_e64 v12, 0, -1, s[0:1]
	v_cmp_le_u32_e64 s[0:1], s10, v11
	v_cndmask_b32_e64 v11, 0, -1, s[0:1]
	v_cmp_eq_u32_e64 s[0:1], s11, v10
	v_cndmask_b32_e64 v10, v12, v11, s[0:1]
	v_add_co_u32_e64 v11, s[0:1], 2, v6
	v_subb_co_u32_e32 v1, vcc, v9, v1, vcc
	v_addc_co_u32_e64 v12, s[0:1], 0, v7, s[0:1]
	v_cmp_le_u32_e32 vcc, s11, v1
	v_add_co_u32_e64 v13, s[0:1], 1, v6
	v_cndmask_b32_e64 v9, 0, -1, vcc
	v_cmp_le_u32_e32 vcc, s10, v0
	v_addc_co_u32_e64 v14, s[0:1], 0, v7, s[0:1]
	v_cndmask_b32_e64 v0, 0, -1, vcc
	v_cmp_eq_u32_e32 vcc, s11, v1
	v_cmp_ne_u32_e64 s[0:1], 0, v10
	v_cndmask_b32_e32 v0, v9, v0, vcc
	v_cndmask_b32_e64 v10, v14, v12, s[0:1]
	v_cmp_ne_u32_e32 vcc, 0, v0
	v_cndmask_b32_e64 v1, v13, v11, s[0:1]
	v_cndmask_b32_e32 v0, v7, v10, vcc
	v_cndmask_b32_e32 v1, v6, v1, vcc
	v_xor_b32_e32 v7, s8, v8
	v_xor_b32_e32 v1, v1, v7
	;; [unrolled: 1-line block ×3, first 2 shown]
	v_sub_co_u32_e32 v6, vcc, v1, v7
	v_subb_co_u32_e32 v7, vcc, v0, v7, vcc
.LBB37_4:
	s_andn2_saveexec_b64 s[0:1], s[6:7]
	s_cbranch_execz .LBB37_6
; %bb.5:
	v_cvt_f32_u32_e32 v0, s20
	s_sub_i32 s6, 0, s20
	v_rcp_iflag_f32_e32 v0, v0
	v_mul_f32_e32 v0, 0x4f7ffffe, v0
	v_cvt_u32_f32_e32 v0, v0
	v_mul_lo_u32 v1, s6, v0
	v_mul_hi_u32 v1, v0, v1
	v_add_u32_e32 v0, v0, v1
	v_mul_hi_u32 v0, v4, v0
	v_mul_lo_u32 v1, v0, s20
	v_sub_u32_e32 v1, v4, v1
	v_add_u32_e32 v6, 1, v0
	v_subrev_u32_e32 v7, s20, v1
	v_cmp_le_u32_e32 vcc, s20, v1
	v_cndmask_b32_e32 v1, v1, v7, vcc
	v_cndmask_b32_e32 v0, v0, v6, vcc
	v_add_u32_e32 v6, 1, v0
	v_cmp_le_u32_e32 vcc, s20, v1
	v_cndmask_b32_e32 v6, v0, v6, vcc
	v_mov_b32_e32 v7, 0
.LBB37_6:
	s_or_b64 exec, exec, s[0:1]
	v_mul_lo_u32 v0, v7, s20
	v_mul_lo_u32 v1, v6, s21
	v_mad_u64_u32 v[8:9], s[0:1], v6, s20, 0
	v_add3_u32 v0, v9, v1, v0
	v_sub_co_u32_e32 v13, vcc, v4, v8
	v_subb_co_u32_e32 v14, vcc, v5, v0, vcc
	v_or_b32_e32 v1, s15, v14
	v_mov_b32_e32 v0, 0
	v_cmp_ne_u64_e32 vcc, 0, v[0:1]
                                        ; implicit-def: $vgpr10_vgpr11
	s_and_saveexec_b64 s[0:1], vcc
	s_xor_b64 s[6:7], exec, s[0:1]
	s_cbranch_execz .LBB37_8
; %bb.7:
	s_ashr_i32 s8, s15, 31
	s_add_u32 s0, s14, s8
	s_mov_b32 s9, s8
	s_addc_u32 s1, s15, s8
	s_xor_b64 s[10:11], s[0:1], s[8:9]
	v_cvt_f32_u32_e32 v0, s10
	v_cvt_f32_u32_e32 v1, s11
	s_sub_u32 s0, 0, s10
	s_subb_u32 s1, 0, s11
	v_madmk_f32 v0, v1, 0x4f800000, v0
	v_rcp_f32_e32 v0, v0
	v_mul_f32_e32 v0, 0x5f7ffffc, v0
	v_mul_f32_e32 v1, 0x2f800000, v0
	v_trunc_f32_e32 v1, v1
	v_madmk_f32 v0, v1, 0xcf800000, v0
	v_cvt_u32_f32_e32 v1, v1
	v_cvt_u32_f32_e32 v0, v0
	v_mul_lo_u32 v7, s0, v1
	v_mul_hi_u32 v10, s0, v0
	v_mul_lo_u32 v9, s1, v0
	v_add_u32_e32 v7, v10, v7
	v_mul_lo_u32 v11, s0, v0
	v_add_u32_e32 v7, v7, v9
	v_mul_lo_u32 v10, v0, v7
	v_mul_hi_u32 v12, v0, v11
	v_mul_hi_u32 v9, v0, v7
	v_add_co_u32_e32 v10, vcc, v12, v10
	v_addc_co_u32_e32 v9, vcc, 0, v9, vcc
	v_mul_hi_u32 v15, v1, v11
	v_mul_lo_u32 v11, v1, v11
	v_add_co_u32_e32 v10, vcc, v10, v11
	v_mul_hi_u32 v12, v1, v7
	v_addc_co_u32_e32 v9, vcc, v9, v15, vcc
	v_addc_co_u32_e32 v10, vcc, 0, v12, vcc
	v_mul_lo_u32 v7, v1, v7
	v_add_co_u32_e32 v7, vcc, v9, v7
	v_addc_co_u32_e32 v9, vcc, 0, v10, vcc
	v_add_co_u32_e32 v0, vcc, v0, v7
	v_addc_co_u32_e32 v1, vcc, v1, v9, vcc
	v_mul_lo_u32 v7, s0, v1
	v_mul_hi_u32 v9, s0, v0
	v_add_u32_e32 v7, v9, v7
	v_mul_lo_u32 v9, s1, v0
	v_add_u32_e32 v7, v7, v9
	v_mul_lo_u32 v10, s0, v0
	v_mul_hi_u32 v11, v1, v10
	v_mul_lo_u32 v12, v1, v10
	v_mul_lo_u32 v16, v0, v7
	v_mul_hi_u32 v10, v0, v10
	v_mul_hi_u32 v15, v0, v7
	v_add_co_u32_e32 v10, vcc, v10, v16
	v_addc_co_u32_e32 v15, vcc, 0, v15, vcc
	v_add_co_u32_e32 v10, vcc, v10, v12
	v_mul_hi_u32 v9, v1, v7
	v_addc_co_u32_e32 v10, vcc, v15, v11, vcc
	v_addc_co_u32_e32 v9, vcc, 0, v9, vcc
	v_mul_lo_u32 v7, v1, v7
	v_add_co_u32_e32 v7, vcc, v10, v7
	v_addc_co_u32_e32 v9, vcc, 0, v9, vcc
	v_add_co_u32_e32 v7, vcc, v0, v7
	v_addc_co_u32_e32 v9, vcc, v1, v9, vcc
	v_ashrrev_i32_e32 v12, 31, v14
	v_add_co_u32_e32 v0, vcc, v13, v12
	v_addc_co_u32_e32 v1, vcc, v14, v12, vcc
	v_xor_b32_e32 v16, v0, v12
	v_xor_b32_e32 v15, v1, v12
	v_mad_u64_u32 v[0:1], s[0:1], v16, v9, 0
	v_mul_hi_u32 v10, v16, v7
	v_add_co_u32_e32 v17, vcc, v10, v0
	v_addc_co_u32_e32 v18, vcc, 0, v1, vcc
	v_mad_u64_u32 v[10:11], s[0:1], v15, v7, 0
	v_add_co_u32_e32 v7, vcc, v17, v10
	v_mad_u64_u32 v[0:1], s[0:1], v15, v9, 0
	v_addc_co_u32_e32 v7, vcc, v18, v11, vcc
	v_addc_co_u32_e32 v1, vcc, 0, v1, vcc
	v_add_co_u32_e32 v7, vcc, v7, v0
	v_addc_co_u32_e32 v9, vcc, 0, v1, vcc
	v_mul_lo_u32 v10, s11, v7
	v_mul_lo_u32 v11, s10, v9
	v_mad_u64_u32 v[0:1], s[0:1], s10, v7, 0
	v_add3_u32 v1, v1, v11, v10
	v_sub_u32_e32 v10, v15, v1
	v_mov_b32_e32 v11, s11
	v_sub_co_u32_e32 v0, vcc, v16, v0
	v_subb_co_u32_e64 v10, s[0:1], v10, v11, vcc
	v_subrev_co_u32_e64 v11, s[0:1], s10, v0
	v_subbrev_co_u32_e64 v10, s[0:1], 0, v10, s[0:1]
	v_cmp_le_u32_e64 s[0:1], s11, v10
	v_cndmask_b32_e64 v16, 0, -1, s[0:1]
	v_cmp_le_u32_e64 s[0:1], s10, v11
	v_cndmask_b32_e64 v11, 0, -1, s[0:1]
	v_cmp_eq_u32_e64 s[0:1], s11, v10
	v_cndmask_b32_e64 v10, v16, v11, s[0:1]
	v_add_co_u32_e64 v11, s[0:1], 2, v7
	v_subb_co_u32_e32 v1, vcc, v15, v1, vcc
	v_addc_co_u32_e64 v16, s[0:1], 0, v9, s[0:1]
	v_cmp_le_u32_e32 vcc, s11, v1
	v_add_co_u32_e64 v17, s[0:1], 1, v7
	v_cndmask_b32_e64 v15, 0, -1, vcc
	v_cmp_le_u32_e32 vcc, s10, v0
	v_addc_co_u32_e64 v18, s[0:1], 0, v9, s[0:1]
	v_cndmask_b32_e64 v0, 0, -1, vcc
	v_cmp_eq_u32_e32 vcc, s11, v1
	v_cmp_ne_u32_e64 s[0:1], 0, v10
	v_cndmask_b32_e32 v0, v15, v0, vcc
	v_cmp_ne_u32_e32 vcc, 0, v0
	v_cndmask_b32_e64 v1, v17, v11, s[0:1]
	v_cndmask_b32_e64 v10, v18, v16, s[0:1]
	v_cndmask_b32_e32 v1, v7, v1, vcc
	v_xor_b32_e32 v7, s8, v12
	v_cndmask_b32_e32 v0, v9, v10, vcc
	v_xor_b32_e32 v1, v1, v7
	v_xor_b32_e32 v0, v0, v7
	v_sub_co_u32_e32 v10, vcc, v1, v7
	v_subb_co_u32_e32 v11, vcc, v0, v7, vcc
.LBB37_8:
	s_or_saveexec_b64 s[0:1], s[6:7]
	s_load_dword s2, s[2:3], 0x0
	s_xor_b64 exec, exec, s[0:1]
	s_cbranch_execz .LBB37_10
; %bb.9:
	v_cvt_f32_u32_e32 v0, s14
	s_sub_i32 s3, 0, s14
	v_mov_b32_e32 v11, 0
	v_rcp_iflag_f32_e32 v0, v0
	v_mul_f32_e32 v0, 0x4f7ffffe, v0
	v_cvt_u32_f32_e32 v0, v0
	v_mul_lo_u32 v1, s3, v0
	v_mul_hi_u32 v1, v0, v1
	v_add_u32_e32 v0, v0, v1
	v_mul_hi_u32 v0, v13, v0
	v_mul_lo_u32 v1, v0, s14
	v_sub_u32_e32 v1, v13, v1
	v_add_u32_e32 v7, 1, v0
	v_subrev_u32_e32 v9, s14, v1
	v_cmp_le_u32_e32 vcc, s14, v1
	v_cndmask_b32_e32 v1, v1, v9, vcc
	v_cndmask_b32_e32 v0, v0, v7, vcc
	v_add_u32_e32 v7, 1, v0
	v_cmp_le_u32_e32 vcc, s14, v1
	v_cndmask_b32_e32 v10, v0, v7, vcc
.LBB37_10:
	s_or_b64 exec, exec, s[0:1]
	s_load_dwordx8 s[36:43], s[4:5], 0x0
	s_load_dwordx2 s[0:1], s[4:5], 0x20
	s_load_dword s3, s[4:5], 0x28
	v_lshlrev_b64 v[0:1], 2, v[4:5]
	v_ashrrev_i32_e32 v15, 31, v6
	s_waitcnt lgkmcnt(0)
	v_mov_b32_e32 v5, s39
	v_add_co_u32_e32 v4, vcc, s38, v0
	v_addc_co_u32_e32 v5, vcc, v5, v1, vcc
	global_load_dword v7, v[4:5], off
	v_mul_lo_u32 v9, v6, s23
	v_mul_lo_u32 v12, v15, s22
	v_mad_u64_u32 v[4:5], s[4:5], v6, s22, 0
	v_add3_u32 v5, v5, v9, v12
	v_mov_b32_e32 v12, s1
	v_add_co_u32_e32 v0, vcc, s0, v0
	v_addc_co_u32_e32 v1, vcc, v12, v1, vcc
	global_load_dword v17, v[0:1], off
	v_lshlrev_b64 v[4:5], 2, v[4:5]
	v_mov_b32_e32 v9, s41
	v_add_co_u32_e32 v4, vcc, s40, v4
	v_addc_co_u32_e32 v5, vcc, v9, v5, vcc
	v_mul_lo_u32 v9, v11, s16
	v_mul_lo_u32 v12, v10, s17
	v_mad_u64_u32 v[0:1], s[0:1], v10, s16, 0
	v_add3_u32 v1, v1, v12, v9
	v_lshlrev_b64 v[0:1], 2, v[0:1]
	v_add_co_u32_e32 v9, vcc, v4, v0
	v_addc_co_u32_e32 v12, vcc, v5, v1, vcc
	s_lshl_b64 s[0:1], s[16:17], 2
	v_mov_b32_e32 v1, s1
	v_add_co_u32_e32 v0, vcc, s0, v9
	v_addc_co_u32_e32 v1, vcc, v12, v1, vcc
	v_lshlrev_b64 v[2:3], 2, v[2:3]
	v_add_co_u32_e32 v4, vcc, v9, v2
	v_mul_lo_u32 v19, s16, v8
	v_mov_b32_e32 v18, 0
	v_addc_co_u32_e32 v5, vcc, v12, v3, vcc
	v_ashrrev_i64 v[18:19], 30, v[18:19]
	v_mov_b32_e32 v8, s37
	v_add_co_u32_e32 v16, vcc, s36, v18
	v_addc_co_u32_e32 v20, vcc, v8, v19, vcc
	v_mul_lo_u32 v8, v11, s14
	v_mul_lo_u32 v21, v10, s15
	v_mad_u64_u32 v[18:19], s[0:1], v10, s14, 0
	v_add3_u32 v8, v19, v21, v8
	v_sub_co_u32_e32 v13, vcc, v13, v18
	v_subb_co_u32_e32 v18, vcc, v14, v8, vcc
	v_mul_lo_u32 v8, v13, s13
	v_mul_lo_u32 v14, v18, s12
	v_mad_u64_u32 v[10:11], s[0:1], v13, s12, v[10:11]
	v_add3_u32 v8, v14, v11, v8
	v_mul_lo_u32 v8, v8, s16
	v_mul_lo_u32 v14, v10, s17
	v_mad_u64_u32 v[10:11], s[0:1], v10, s16, 0
	v_add3_u32 v11, v11, v14, v8
	v_lshlrev_b64 v[10:11], 2, v[10:11]
	v_add_co_u32_e32 v8, vcc, v16, v10
	v_addc_co_u32_e32 v10, vcc, v20, v11, vcc
	v_mul_lo_u32 v11, v6, s25
	v_mul_lo_u32 v16, v15, s24
	v_mad_u64_u32 v[14:15], s[0:1], v6, s24, 0
	v_add3_u32 v15, v15, v11, v16
	v_lshlrev_b64 v[14:15], 2, v[14:15]
	v_mov_b32_e32 v6, s43
	v_add_co_u32_e32 v11, vcc, s42, v14
	v_addc_co_u32_e32 v16, vcc, v6, v15, vcc
	v_mul_lo_u32 v6, v18, s16
	v_mul_lo_u32 v18, v13, s17
	v_mad_u64_u32 v[14:15], s[0:1], v13, s16, 0
	v_add3_u32 v15, v15, v18, v6
	v_lshlrev_b64 v[14:15], 2, v[14:15]
	v_add_co_u32_e32 v6, vcc, v11, v14
	v_addc_co_u32_e32 v11, vcc, v16, v15, vcc
	v_add_f32_e64 v13, s3, -1.0
	s_waitcnt vmcnt(0)
	v_cmp_eq_f32_e32 vcc, 1.0, v17
	v_cndmask_b32_e64 v34, v13, 1.0, vcc
	s_mul_i32 s8, s2, s18
	v_cmp_lt_f32_e64 s[6:7], s3, 1.0
	v_cmp_eq_f32_e64 s[2:3], 0, v34
	v_cndmask_b32_e64 v35, |v17|, 1.0, s[2:3]
	v_frexp_mant_f32_e32 v14, v35
	s_mov_b32 s14, 0x3f2aaaab
	v_cmp_gt_f32_e64 s[4:5], s14, v14
	v_cndmask_b32_e64 v15, 1.0, 2.0, s[4:5]
	v_mul_f32_e32 v14, v14, v15
	v_add_f32_e32 v16, 1.0, v14
	v_rcp_f32_e32 v24, v16
	v_add_f32_e32 v15, -1.0, v16
	v_sub_f32_e32 v19, v14, v15
	v_add_f32_e32 v15, -1.0, v14
	v_mul_f32_e32 v25, v15, v24
	v_mul_f32_e32 v18, v16, v25
	v_fma_f32 v20, v25, v16, -v18
	v_fmac_f32_e32 v20, v25, v19
	v_add_f32_e32 v14, v18, v20
	v_sub_f32_e32 v19, v15, v14
	v_pk_add_f32 v[22:23], v[14:15], v[18:19] neg_lo:[0,1] neg_hi:[0,1]
	v_mov_b32_e32 v21, v14
	v_pk_add_f32 v[14:15], v[22:23], v[20:21] neg_lo:[0,1] neg_hi:[0,1]
	v_add_f32_e32 v14, v14, v15
	v_add_f32_e32 v14, v19, v14
	v_mul_f32_e32 v14, v24, v14
	v_add_f32_e32 v18, v25, v14
	v_sub_f32_e32 v15, v18, v25
	v_sub_f32_e32 v15, v14, v15
	v_mul_f32_e32 v16, v18, v18
	v_fma_f32 v19, v18, v18, -v16
	v_add_f32_e32 v14, v15, v15
	v_fmac_f32_e32 v19, v18, v14
	v_add_f32_e32 v20, v16, v19
	v_mov_b32_e32 v21, 0x3e91f4c4
	v_fmac_f32_e32 v21, 0x3e76c4e1, v20
	v_mov_b32_e32 v14, 0x3ecccdef
	v_fma_f32 v21, v20, v21, v14
	v_sub_f32_e32 v16, v20, v16
	v_sub_f32_e32 v16, v19, v16
	v_mul_f32_e32 v19, v20, v21
	v_fma_f32 v22, v20, v21, -v19
	v_fmac_f32_e32 v22, v16, v21
	v_add_f32_e32 v21, v19, v22
	v_add_f32_e32 v23, 0x3f2aaaaa, v21
	v_sub_f32_e32 v19, v21, v19
	v_sub_f32_e32 v19, v22, v19
	v_add_f32_e32 v22, 0xbf2aaaaa, v23
	v_add_f32_e32 v19, 0x31739010, v19
	v_sub_f32_e32 v21, v21, v22
	v_pk_mul_f32 v[24:25], v[18:19], v[20:21]
	v_fma_f32 v22, v20, v18, -v24
	v_pk_add_f32 v[26:27], v[18:19], v[20:21]
	v_fmac_f32_e32 v22, v20, v15
	v_mov_b32_e32 v25, v27
	v_fmac_f32_e32 v22, v16, v18
	v_pk_add_f32 v[20:21], v[24:25], v[22:23]
	v_sub_f32_e32 v16, v20, v24
	v_sub_f32_e32 v19, v22, v16
	;; [unrolled: 1-line block ×3, first 2 shown]
	v_add_f32_e32 v25, v27, v16
	v_mov_b32_e32 v16, v21
	v_cvt_f64_f32_e32 v[26:27], v35
	v_pk_mul_f32 v[22:23], v[20:21], v[16:17]
	v_frexp_exp_i32_f64_e32 v16, v[26:27]
	v_subbrev_co_u32_e64 v16, s[4:5], 0, v16, s[4:5]
	v_cvt_f32_i32_e32 v16, v16
	v_fma_f32 v24, v20, v21, -v22
	v_fmac_f32_e32 v24, v20, v25
	s_mov_b32 s15, 0x3f317218
	v_mul_f32_e32 v20, 0x3f317218, v16
	v_fmac_f32_e32 v24, v19, v21
	v_fma_f32 v26, v16, s15, -v20
	v_fmac_f32_e32 v26, 0xb102e308, v16
	v_ldexp_f32 v27, v18, 1
	v_add_f32_e32 v21, v22, v24
	v_pk_add_f32 v[18:19], v[20:21], v[26:27]
	v_mov_b32_e32 v28, v21
	v_mov_b32_e32 v29, v19
	;; [unrolled: 1-line block ×3, first 2 shown]
	v_pk_add_f32 v[22:23], v[28:29], v[22:23] neg_lo:[0,1] neg_hi:[0,1]
	v_mov_b32_e32 v25, v21
	v_ldexp_f32 v15, v15, 1
	v_pk_add_f32 v[22:23], v[24:25], v[22:23] neg_lo:[0,1] neg_hi:[0,1]
	v_add_f32_e32 v15, v15, v22
	v_add_f32_e32 v21, v15, v23
	v_pk_add_f32 v[22:23], v[18:19], v[20:21] neg_lo:[0,1] neg_hi:[0,1]
	v_pk_add_f32 v[24:25], v[18:19], v[20:21]
	v_mov_b32_e32 v28, v22
	v_mov_b32_e32 v29, v25
	;; [unrolled: 1-line block ×3, first 2 shown]
	v_pk_add_f32 v[28:29], v[26:27], v[28:29]
	v_mov_b32_e32 v16, v29
	v_pk_add_f32 v[30:31], v[16:17], v[18:19] neg_lo:[0,1] neg_hi:[0,1]
	v_mov_b32_e32 v15, v30
	v_mov_b32_e32 v28, v25
	;; [unrolled: 1-line block ×4, first 2 shown]
	v_pk_add_f32 v[22:23], v[26:27], v[22:23] neg_lo:[0,1] neg_hi:[0,1]
	v_pk_add_f32 v[32:33], v[24:25], v[14:15] neg_lo:[0,1] neg_hi:[0,1]
	;; [unrolled: 1-line block ×3, first 2 shown]
	v_mov_b32_e32 v26, v21
	v_pk_add_f32 v[18:19], v[26:27], v[18:19] neg_lo:[0,1] neg_hi:[0,1]
	v_mov_b32_e32 v32, v22
	v_pk_add_f32 v[20:21], v[32:33], v[18:19]
	v_mov_b32_e32 v24, v21
	v_pk_add_f32 v[24:25], v[20:21], v[24:25]
	v_pk_add_f32 v[26:27], v[16:17], v[24:25]
	v_mov_b32_e32 v23, v29
	v_mov_b32_e32 v21, v26
	v_pk_add_f32 v[28:29], v[20:21], v[22:23] neg_lo:[0,1] neg_hi:[0,1]
	v_mov_b32_e32 v19, v24
	v_sub_f32_e32 v15, v20, v28
	v_pk_add_f32 v[18:19], v[18:19], v[28:29] neg_lo:[0,1] neg_hi:[0,1]
	v_sub_f32_e32 v15, v22, v15
	v_add_f32_e32 v15, v18, v15
	v_add_f32_e32 v15, v15, v19
	;; [unrolled: 1-line block ×3, first 2 shown]
	v_sub_f32_e32 v18, v16, v26
	v_sub_f32_e32 v15, v15, v18
	v_mul_f32_e32 v18, v34, v16
	v_fma_f32 v16, v34, v16, -v18
	v_fmac_f32_e32 v16, v34, v15
	s_movk_i32 s16, 0x204
	v_add_f32_e32 v15, v18, v16
	v_cmp_class_f32_e64 s[4:5], v18, s16
	v_sub_f32_e32 v19, v15, v18
	v_cndmask_b32_e64 v18, v15, v18, s[4:5]
	s_mov_b32 s18, 0x42b17218
	v_mov_b32_e32 v15, 0x37000000
	v_cmp_eq_f32_e64 s[4:5], s18, v18
	v_sub_f32_e32 v16, v16, v19
	v_cndmask_b32_e64 v19, 0, v15, s[4:5]
	v_sub_f32_e32 v20, v18, v19
	s_mov_b32 s19, 0x3fb8aa3b
	v_mul_f32_e32 v21, 0x3fb8aa3b, v20
	v_fma_f32 v22, v20, s19, -v21
	v_rndne_f32_e32 v23, v21
	v_fmac_f32_e32 v22, 0x32a5705f, v20
	v_sub_f32_e32 v21, v21, v23
	v_add_f32_e32 v21, v21, v22
	v_exp_f32_e32 v21, v21
	v_cvt_i32_f32_e32 v22, v23
	s_mov_b32 s17, 0x7f800000
	v_cmp_neq_f32_e64 s[4:5], |v18|, s17
	v_cndmask_b32_e64 v16, 0, v16, s[4:5]
	s_mov_b32 s20, 0xc2ce8ed0
	v_add_f32_e32 v18, v19, v16
	v_ldexp_f32 v16, v21, v22
	v_cmp_ngt_f32_e64 s[4:5], s20, v20
	v_cndmask_b32_e64 v19, 0, v16, s[4:5]
	v_mov_b32_e32 v16, 0x7f800000
	v_cmp_nlt_f32_e64 s[4:5], s18, v20
	v_cndmask_b32_e64 v19, v16, v19, s[4:5]
	v_fma_f32 v18, v19, v18, v19
	v_cmp_class_f32_e64 s[4:5], v19, s16
	v_trunc_f32_e32 v20, v34
	v_cndmask_b32_e64 v18, v18, v19, s[4:5]
	v_cndmask_b32_e64 v19, v17, 1.0, s[2:3]
	v_cmp_eq_f32_e64 s[2:3], v20, v34
	v_mul_f32_e32 v20, 0.5, v34
	v_trunc_f32_e32 v21, v20
	v_cmp_neq_f32_e64 s[4:5], v21, v20
	s_and_b64 s[4:5], s[2:3], s[4:5]
	v_cndmask_b32_e64 v20, 1.0, v19, s[4:5]
	s_brev_b32 s9, -2
	v_cmp_eq_f32_e64 s[0:1], 0, v17
	v_mov_b32_e32 v17, 0x7fc00000
	v_bfi_b32 v18, s9, v18, v20
	v_cndmask_b32_e64 v20, v17, v18, s[2:3]
	v_cmp_gt_f32_e64 s[2:3], 0, v19
	v_cndmask_b32_e64 v18, v18, v20, s[2:3]
	v_cndmask_b32_e64 v20, |v13|, 1.0, vcc
	v_cmp_neq_f32_e32 vcc, v34, v20
	v_cmp_gt_f32_e64 s[2:3], 1.0, v35
	s_xor_b64 s[2:3], vcc, s[2:3]
	v_cndmask_b32_e64 v21, v20, 0, s[2:3]
	v_cmp_eq_f32_e32 vcc, 1.0, v35
	v_cndmask_b32_e32 v21, v21, v35, vcc
	v_cmp_eq_f32_e32 vcc, s17, v20
	v_cndmask_b32_e32 v18, v18, v21, vcc
	v_cmp_gt_f32_e32 vcc, 0, v34
	v_cndmask_b32_e64 v20, v16, 0, vcc
	v_cndmask_b32_e64 v21, 0, v19, s[4:5]
	v_bfi_b32 v20, s9, v20, v21
	v_cmp_eq_f32_e32 vcc, s17, v35
	v_cndmask_b32_e32 v18, v18, v20, vcc
	v_cmp_o_f32_e32 vcc, v19, v34
	s_ashr_i32 s9, s8, 31
	v_cndmask_b32_e32 v18, v17, v18, vcc
	s_lshl_b64 s[8:9], s[8:9], 2
	s_mov_b64 s[10:11], 0
	s_branch .LBB37_12
.LBB37_11:                              ;   in Loop: Header=BB37_12 Depth=1
	s_or_b64 exec, exec, s[12:13]
	v_add_co_u32_e32 v22, vcc, v8, v2
	v_addc_co_u32_e32 v23, vcc, v10, v3, vcc
	v_mov_b32_e32 v19, s9
	v_add_co_u32_e32 v4, vcc, s8, v4
	v_addc_co_u32_e32 v5, vcc, v5, v19, vcc
	v_cmp_ge_u64_e32 vcc, v[4:5], v[0:1]
	s_or_b64 s[10:11], vcc, s[10:11]
	v_add_co_u32_e32 v2, vcc, s8, v2
	v_addc_co_u32_e32 v3, vcc, v3, v19, vcc
	global_store_dword v[22:23], v20, off
	s_andn2_b64 exec, exec, s[10:11]
	s_cbranch_execz .LBB37_14
.LBB37_12:                              ; =>This Inner Loop Header: Depth=1
	v_add_co_u32_e32 v20, vcc, v6, v2
	v_addc_co_u32_e32 v21, vcc, v11, v3, vcc
	v_add_co_u32_e32 v22, vcc, v9, v2
	v_addc_co_u32_e32 v23, vcc, v12, v3, vcc
	global_load_dword v19, v[22:23], off
	global_load_dword v24, v[20:21], off
	v_mov_b32_e32 v20, 0
	s_waitcnt vmcnt(0)
	v_sub_f32_e32 v19, v19, v24
	v_cmp_eq_f32_e32 vcc, 0, v19
	s_and_b64 s[2:3], s[6:7], vcc
	s_or_b64 s[2:3], s[0:1], s[2:3]
	s_xor_b64 s[2:3], s[2:3], -1
	s_and_saveexec_b64 s[12:13], s[2:3]
	s_cbranch_execz .LBB37_11
; %bb.13:                               ;   in Loop: Header=BB37_12 Depth=1
	v_cmp_lt_f32_e32 vcc, 0, v19
	v_cndmask_b32_e64 v20, 0, 1, vcc
	v_cmp_gt_f32_e32 vcc, 0, v19
	v_cmp_eq_f32_e64 s[2:3], |v19|, 1.0
	v_subbrev_co_u32_e32 v20, vcc, 0, v20, vcc
	v_cndmask_b32_e64 v37, v13, 1.0, s[2:3]
	v_cmp_neq_f32_e32 vcc, 0, v37
	v_cndmask_b32_e64 v38, 1.0, |v19|, vcc
	v_frexp_mant_f32_e32 v19, v38
	v_cmp_gt_f32_e32 vcc, s14, v19
	v_cvt_f32_i32_e32 v36, v20
	v_cndmask_b32_e64 v20, 1.0, 2.0, vcc
	v_mul_f32_e32 v19, v19, v20
	v_add_f32_e32 v20, 1.0, v19
	v_rcp_f32_e32 v28, v20
	v_add_f32_e32 v21, -1.0, v20
	v_sub_f32_e32 v23, v19, v21
	v_add_f32_e32 v21, -1.0, v19
	v_mul_f32_e32 v19, v21, v28
	v_mul_f32_e32 v22, v20, v19
	v_fma_f32 v24, v19, v20, -v22
	v_fmac_f32_e32 v24, v19, v23
	v_add_f32_e32 v20, v22, v24
	v_sub_f32_e32 v23, v21, v20
	v_pk_add_f32 v[26:27], v[20:21], v[22:23] neg_lo:[0,1] neg_hi:[0,1]
	v_mov_b32_e32 v25, v20
	v_pk_add_f32 v[20:21], v[26:27], v[24:25] neg_lo:[0,1] neg_hi:[0,1]
	v_add_f32_e32 v20, v20, v21
	v_add_f32_e32 v20, v23, v20
	v_mul_f32_e32 v21, v28, v20
	v_add_f32_e32 v20, v19, v21
	v_sub_f32_e32 v19, v20, v19
	v_sub_f32_e32 v19, v21, v19
	v_mul_f32_e32 v21, v20, v20
	v_fma_f32 v23, v20, v20, -v21
	v_add_f32_e32 v22, v19, v19
	v_fmac_f32_e32 v23, v20, v22
	v_add_f32_e32 v22, v21, v23
	v_mov_b32_e32 v24, 0x3e91f4c4
	v_fmac_f32_e32 v24, 0x3e76c4e1, v22
	v_fma_f32 v24, v22, v24, v14
	v_sub_f32_e32 v21, v22, v21
	v_sub_f32_e32 v30, v23, v21
	v_mul_f32_e32 v21, v22, v24
	v_fma_f32 v23, v22, v24, -v21
	v_fmac_f32_e32 v23, v30, v24
	v_add_f32_e32 v24, v21, v23
	v_add_f32_e32 v25, 0x3f2aaaaa, v24
	v_sub_f32_e32 v21, v24, v21
	v_sub_f32_e32 v21, v23, v21
	v_add_f32_e32 v23, 0xbf2aaaaa, v25
	v_add_f32_e32 v21, 0x31739010, v21
	v_sub_f32_e32 v23, v24, v23
	v_pk_mul_f32 v[26:27], v[20:21], v[22:23]
	v_fma_f32 v24, v22, v20, -v26
	v_pk_add_f32 v[28:29], v[20:21], v[22:23]
	v_fmac_f32_e32 v24, v22, v19
	v_mov_b32_e32 v27, v29
	v_fmac_f32_e32 v24, v30, v20
	v_pk_add_f32 v[22:23], v[26:27], v[24:25]
	v_sub_f32_e32 v21, v22, v26
	v_sub_f32_e32 v21, v24, v21
	;; [unrolled: 1-line block ×3, first 2 shown]
	v_add_f32_e32 v28, v29, v24
	v_mov_b32_e32 v24, v23
	v_pk_mul_f32 v[24:25], v[22:23], v[24:25]
	v_cvt_f64_f32_e32 v[26:27], v38
	v_frexp_exp_i32_f64_e32 v25, v[26:27]
	v_subbrev_co_u32_e32 v25, vcc, 0, v25, vcc
	v_cvt_f32_i32_e32 v25, v25
	v_fma_f32 v26, v22, v23, -v24
	v_fmac_f32_e32 v26, v22, v28
	v_fmac_f32_e32 v26, v21, v23
	v_mul_f32_e32 v22, 0x3f317218, v25
	v_fma_f32 v28, v25, s15, -v22
	v_fmac_f32_e32 v28, 0xb102e308, v25
	v_ldexp_f32 v29, v20, 1
	v_add_f32_e32 v23, v24, v26
	v_pk_add_f32 v[20:21], v[22:23], v[28:29]
	v_mov_b32_e32 v30, v23
	v_mov_b32_e32 v31, v21
	;; [unrolled: 1-line block ×3, first 2 shown]
	v_pk_add_f32 v[24:25], v[30:31], v[24:25] neg_lo:[0,1] neg_hi:[0,1]
	v_mov_b32_e32 v27, v23
	v_ldexp_f32 v19, v19, 1
	v_pk_add_f32 v[24:25], v[26:27], v[24:25] neg_lo:[0,1] neg_hi:[0,1]
	v_add_f32_e32 v19, v19, v24
	v_add_f32_e32 v23, v19, v25
	v_pk_add_f32 v[24:25], v[20:21], v[22:23] neg_lo:[0,1] neg_hi:[0,1]
	v_pk_add_f32 v[26:27], v[20:21], v[22:23]
	v_mov_b32_e32 v30, v24
	v_mov_b32_e32 v31, v27
	;; [unrolled: 1-line block ×3, first 2 shown]
	v_pk_add_f32 v[30:31], v[28:29], v[30:31]
	v_mov_b32_e32 v22, v31
	v_pk_add_f32 v[32:33], v[22:23], v[20:21] neg_lo:[0,1] neg_hi:[0,1]
	v_mov_b32_e32 v19, v32
	v_mov_b32_e32 v30, v27
	;; [unrolled: 1-line block ×4, first 2 shown]
	v_pk_add_f32 v[24:25], v[28:29], v[24:25] neg_lo:[0,1] neg_hi:[0,1]
	v_pk_add_f32 v[34:35], v[26:27], v[18:19] neg_lo:[0,1] neg_hi:[0,1]
	;; [unrolled: 1-line block ×3, first 2 shown]
	v_mov_b32_e32 v28, v23
	v_pk_add_f32 v[20:21], v[28:29], v[20:21] neg_lo:[0,1] neg_hi:[0,1]
	v_mov_b32_e32 v34, v24
	v_pk_add_f32 v[26:27], v[34:35], v[20:21]
	v_mov_b32_e32 v28, v27
	v_pk_add_f32 v[28:29], v[26:27], v[28:29]
	v_pk_add_f32 v[22:23], v[22:23], v[28:29]
	v_mov_b32_e32 v25, v31
	v_mov_b32_e32 v27, v22
	v_pk_add_f32 v[30:31], v[26:27], v[24:25] neg_lo:[0,1] neg_hi:[0,1]
	v_mov_b32_e32 v21, v28
	v_sub_f32_e32 v19, v26, v30
	v_pk_add_f32 v[20:21], v[20:21], v[30:31] neg_lo:[0,1] neg_hi:[0,1]
	v_sub_f32_e32 v19, v24, v19
	v_add_f32_e32 v19, v20, v19
	v_add_f32_e32 v19, v19, v21
	;; [unrolled: 1-line block ×3, first 2 shown]
	v_sub_f32_e32 v21, v20, v22
	v_sub_f32_e32 v19, v19, v21
	v_mul_f32_e32 v21, v37, v20
	v_fma_f32 v20, v37, v20, -v21
	v_fmac_f32_e32 v20, v37, v19
	v_add_f32_e32 v19, v21, v20
	v_cmp_class_f32_e64 vcc, v21, s16
	v_sub_f32_e32 v22, v19, v21
	v_cndmask_b32_e32 v19, v19, v21, vcc
	v_cmp_eq_f32_e32 vcc, s18, v19
	v_cndmask_b32_e32 v21, 0, v15, vcc
	v_sub_f32_e32 v20, v20, v22
	v_sub_f32_e32 v22, v19, v21
	v_mul_f32_e32 v23, 0x3fb8aa3b, v22
	v_fma_f32 v24, v22, s19, -v23
	v_rndne_f32_e32 v25, v23
	v_fmac_f32_e32 v24, 0x32a5705f, v22
	v_sub_f32_e32 v23, v23, v25
	v_add_f32_e32 v23, v23, v24
	v_exp_f32_e32 v23, v23
	v_cvt_i32_f32_e32 v24, v25
	v_cmp_neq_f32_e64 vcc, |v19|, s17
	v_cndmask_b32_e32 v19, 0, v20, vcc
	v_cmp_ngt_f32_e32 vcc, s20, v22
	v_ldexp_f32 v20, v23, v24
	v_cndmask_b32_e32 v20, 0, v20, vcc
	v_cmp_nlt_f32_e32 vcc, s18, v22
	v_add_f32_e32 v19, v21, v19
	v_cndmask_b32_e32 v20, v16, v20, vcc
	v_fma_f32 v19, v20, v19, v20
	v_cmp_class_f32_e64 vcc, v20, s16
	v_cndmask_b32_e32 v19, v19, v20, vcc
	v_cndmask_b32_e64 v20, |v13|, 1.0, s[2:3]
	v_cmp_neq_f32_e32 vcc, v37, v20
	v_cmp_gt_f32_e64 s[2:3], 1.0, v38
	s_xor_b64 s[2:3], vcc, s[2:3]
	v_cndmask_b32_e64 v21, v20, 0, s[2:3]
	v_cmp_eq_f32_e32 vcc, 1.0, v38
	v_cndmask_b32_e32 v21, v21, v38, vcc
	v_cmp_eq_f32_e32 vcc, s17, v20
	v_cmp_eq_f32_e64 s[2:3], 0, v38
	v_cmp_gt_f32_e64 s[4:5], 0, v37
	v_cndmask_b32_e64 v19, |v19|, v21, vcc
	v_cmp_eq_f32_e32 vcc, s17, v38
	s_xor_b64 s[4:5], s[4:5], s[2:3]
	v_cndmask_b32_e64 v20, v16, 0, s[4:5]
	s_or_b64 vcc, vcc, s[2:3]
	v_cndmask_b32_e32 v19, v19, v20, vcc
	v_cmp_o_f32_e32 vcc, v38, v37
	v_cndmask_b32_e32 v19, v17, v19, vcc
	v_mul_f32_e32 v19, v19, v36
	v_mul_f32_e32 v19, v7, v19
	v_div_scale_f32 v20, s[2:3], v18, v18, v19
	v_rcp_f32_e32 v21, v20
	v_fma_f32 v22, -v20, v21, 1.0
	v_fmac_f32_e32 v21, v22, v21
	v_div_scale_f32 v22, vcc, v19, v18, v19
	v_mul_f32_e32 v23, v22, v21
	v_fma_f32 v24, -v20, v23, v22
	v_fmac_f32_e32 v23, v24, v21
	v_fma_f32 v20, -v20, v23, v22
	v_div_fmas_f32 v20, v20, v21, v23
	v_div_fixup_f32 v20, v20, v18, v19
	s_branch .LBB37_11
.LBB37_14:
	s_endpgm
	.section	.rodata,"a",@progbits
	.p2align	6, 0x0
	.amdhsa_kernel _ZN2at6native12_GLOBAL__N_131cdist_backward_kernel_cuda_implIfNS1_5distsIfE6lt_twoEEEvPT_PKS6_S9_S9_S9_S6_lllllll
		.amdhsa_group_segment_fixed_size 0
		.amdhsa_private_segment_fixed_size 0
		.amdhsa_kernarg_size 360
		.amdhsa_user_sgpr_count 6
		.amdhsa_user_sgpr_private_segment_buffer 1
		.amdhsa_user_sgpr_dispatch_ptr 0
		.amdhsa_user_sgpr_queue_ptr 0
		.amdhsa_user_sgpr_kernarg_segment_ptr 1
		.amdhsa_user_sgpr_dispatch_id 0
		.amdhsa_user_sgpr_flat_scratch_init 0
		.amdhsa_user_sgpr_kernarg_preload_length 0
		.amdhsa_user_sgpr_kernarg_preload_offset 0
		.amdhsa_user_sgpr_private_segment_size 0
		.amdhsa_uses_dynamic_stack 0
		.amdhsa_system_sgpr_private_segment_wavefront_offset 0
		.amdhsa_system_sgpr_workgroup_id_x 1
		.amdhsa_system_sgpr_workgroup_id_y 1
		.amdhsa_system_sgpr_workgroup_id_z 1
		.amdhsa_system_sgpr_workgroup_info 0
		.amdhsa_system_vgpr_workitem_id 1
		.amdhsa_next_free_vgpr 39
		.amdhsa_next_free_sgpr 44
		.amdhsa_accum_offset 40
		.amdhsa_reserve_vcc 1
		.amdhsa_reserve_flat_scratch 0
		.amdhsa_float_round_mode_32 0
		.amdhsa_float_round_mode_16_64 0
		.amdhsa_float_denorm_mode_32 3
		.amdhsa_float_denorm_mode_16_64 3
		.amdhsa_dx10_clamp 1
		.amdhsa_ieee_mode 1
		.amdhsa_fp16_overflow 0
		.amdhsa_tg_split 0
		.amdhsa_exception_fp_ieee_invalid_op 0
		.amdhsa_exception_fp_denorm_src 0
		.amdhsa_exception_fp_ieee_div_zero 0
		.amdhsa_exception_fp_ieee_overflow 0
		.amdhsa_exception_fp_ieee_underflow 0
		.amdhsa_exception_fp_ieee_inexact 0
		.amdhsa_exception_int_div_zero 0
	.end_amdhsa_kernel
	.section	.text._ZN2at6native12_GLOBAL__N_131cdist_backward_kernel_cuda_implIfNS1_5distsIfE6lt_twoEEEvPT_PKS6_S9_S9_S9_S6_lllllll,"axG",@progbits,_ZN2at6native12_GLOBAL__N_131cdist_backward_kernel_cuda_implIfNS1_5distsIfE6lt_twoEEEvPT_PKS6_S9_S9_S9_S6_lllllll,comdat
.Lfunc_end37:
	.size	_ZN2at6native12_GLOBAL__N_131cdist_backward_kernel_cuda_implIfNS1_5distsIfE6lt_twoEEEvPT_PKS6_S9_S9_S9_S6_lllllll, .Lfunc_end37-_ZN2at6native12_GLOBAL__N_131cdist_backward_kernel_cuda_implIfNS1_5distsIfE6lt_twoEEEvPT_PKS6_S9_S9_S9_S6_lllllll
                                        ; -- End function
	.section	.AMDGPU.csdata,"",@progbits
; Kernel info:
; codeLenInByte = 4540
; NumSgprs: 48
; NumVgprs: 39
; NumAgprs: 0
; TotalNumVgprs: 39
; ScratchSize: 0
; MemoryBound: 0
; FloatMode: 240
; IeeeMode: 1
; LDSByteSize: 0 bytes/workgroup (compile time only)
; SGPRBlocks: 5
; VGPRBlocks: 4
; NumSGPRsForWavesPerEU: 48
; NumVGPRsForWavesPerEU: 39
; AccumOffset: 40
; Occupancy: 8
; WaveLimiterHint : 0
; COMPUTE_PGM_RSRC2:SCRATCH_EN: 0
; COMPUTE_PGM_RSRC2:USER_SGPR: 6
; COMPUTE_PGM_RSRC2:TRAP_HANDLER: 0
; COMPUTE_PGM_RSRC2:TGID_X_EN: 1
; COMPUTE_PGM_RSRC2:TGID_Y_EN: 1
; COMPUTE_PGM_RSRC2:TGID_Z_EN: 1
; COMPUTE_PGM_RSRC2:TIDIG_COMP_CNT: 1
; COMPUTE_PGM_RSRC3_GFX90A:ACCUM_OFFSET: 9
; COMPUTE_PGM_RSRC3_GFX90A:TG_SPLIT: 0
	.section	.text._ZN2at6native12_GLOBAL__N_131cdist_backward_kernel_cuda_implIfNS1_5distsIfE3twoEEEvPT_PKS6_S9_S9_S9_S6_lllllll,"axG",@progbits,_ZN2at6native12_GLOBAL__N_131cdist_backward_kernel_cuda_implIfNS1_5distsIfE3twoEEEvPT_PKS6_S9_S9_S9_S6_lllllll,comdat
	.globl	_ZN2at6native12_GLOBAL__N_131cdist_backward_kernel_cuda_implIfNS1_5distsIfE3twoEEEvPT_PKS6_S9_S9_S9_S6_lllllll ; -- Begin function _ZN2at6native12_GLOBAL__N_131cdist_backward_kernel_cuda_implIfNS1_5distsIfE3twoEEEvPT_PKS6_S9_S9_S9_S6_lllllll
	.p2align	8
	.type	_ZN2at6native12_GLOBAL__N_131cdist_backward_kernel_cuda_implIfNS1_5distsIfE3twoEEEvPT_PKS6_S9_S9_S9_S6_lllllll,@function
_ZN2at6native12_GLOBAL__N_131cdist_backward_kernel_cuda_implIfNS1_5distsIfE3twoEEEvPT_PKS6_S9_S9_S9_S6_lllllll: ; @_ZN2at6native12_GLOBAL__N_131cdist_backward_kernel_cuda_implIfNS1_5distsIfE3twoEEEvPT_PKS6_S9_S9_S9_S6_lllllll
; %bb.0:
	s_load_dwordx2 s[0:1], s[4:5], 0x70
	s_load_dwordx8 s[12:19], s[4:5], 0x30
	s_add_u32 s2, s4, 0x68
	s_addc_u32 s3, s5, 0
	v_bfe_u32 v1, v0, 10, 10
	s_waitcnt lgkmcnt(0)
	s_mul_i32 s0, s0, s7
	s_add_i32 s0, s0, s8
	s_lshr_b32 s7, s1, 16
	s_mul_i32 s0, s0, s7
	v_add_u32_e32 v2, s0, v1
	v_ashrrev_i32_e32 v3, 31, v2
	v_cmp_gt_i64_e32 vcc, s[18:19], v[2:3]
	s_and_saveexec_b64 s[8:9], vcc
	s_cbranch_execz .LBB38_14
; %bb.1:
	s_load_dwordx8 s[20:27], s[4:5], 0x50
	s_and_b32 s18, s1, 0xffff
	s_mul_i32 s6, s6, s18
	v_and_b32_e32 v0, 0x3ff, v0
	v_add_u32_e32 v0, s6, v0
	v_ashrrev_i32_e32 v1, 31, v0
	v_cmp_gt_i64_e32 vcc, s[16:17], v[0:1]
	s_and_b64 exec, exec, vcc
	s_cbranch_execz .LBB38_14
; %bb.2:
	s_waitcnt lgkmcnt(0)
	v_or_b32_e32 v5, s21, v3
	v_mov_b32_e32 v4, 0
	v_cmp_ne_u64_e32 vcc, 0, v[4:5]
                                        ; implicit-def: $vgpr4_vgpr5
	s_and_saveexec_b64 s[0:1], vcc
	s_xor_b64 s[6:7], exec, s[0:1]
	s_cbranch_execz .LBB38_4
; %bb.3:
	s_ashr_i32 s8, s21, 31
	s_add_u32 s0, s20, s8
	s_mov_b32 s9, s8
	s_addc_u32 s1, s21, s8
	s_xor_b64 s[10:11], s[0:1], s[8:9]
	v_cvt_f32_u32_e32 v4, s10
	v_cvt_f32_u32_e32 v5, s11
	s_sub_u32 s0, 0, s10
	s_subb_u32 s1, 0, s11
	v_madmk_f32 v4, v5, 0x4f800000, v4
	v_rcp_f32_e32 v4, v4
	v_mul_f32_e32 v4, 0x5f7ffffc, v4
	v_mul_f32_e32 v5, 0x2f800000, v4
	v_trunc_f32_e32 v5, v5
	v_madmk_f32 v4, v5, 0xcf800000, v4
	v_cvt_u32_f32_e32 v5, v5
	v_cvt_u32_f32_e32 v4, v4
	v_mul_lo_u32 v6, s0, v5
	v_mul_hi_u32 v8, s0, v4
	v_mul_lo_u32 v7, s1, v4
	v_add_u32_e32 v6, v8, v6
	v_mul_lo_u32 v9, s0, v4
	v_add_u32_e32 v6, v6, v7
	v_mul_lo_u32 v8, v4, v6
	v_mul_hi_u32 v10, v4, v9
	v_mul_hi_u32 v7, v4, v6
	v_add_co_u32_e32 v8, vcc, v10, v8
	v_addc_co_u32_e32 v7, vcc, 0, v7, vcc
	v_mul_hi_u32 v11, v5, v9
	v_mul_lo_u32 v9, v5, v9
	v_add_co_u32_e32 v8, vcc, v8, v9
	v_mul_hi_u32 v10, v5, v6
	v_addc_co_u32_e32 v7, vcc, v7, v11, vcc
	v_addc_co_u32_e32 v8, vcc, 0, v10, vcc
	v_mul_lo_u32 v6, v5, v6
	v_add_co_u32_e32 v6, vcc, v7, v6
	v_addc_co_u32_e32 v7, vcc, 0, v8, vcc
	v_add_co_u32_e32 v4, vcc, v4, v6
	v_addc_co_u32_e32 v5, vcc, v5, v7, vcc
	v_mul_lo_u32 v6, s0, v5
	v_mul_hi_u32 v7, s0, v4
	v_add_u32_e32 v6, v7, v6
	v_mul_lo_u32 v7, s1, v4
	v_add_u32_e32 v6, v6, v7
	v_mul_lo_u32 v8, s0, v4
	v_mul_hi_u32 v9, v5, v8
	v_mul_lo_u32 v10, v5, v8
	v_mul_lo_u32 v12, v4, v6
	v_mul_hi_u32 v8, v4, v8
	v_mul_hi_u32 v11, v4, v6
	v_add_co_u32_e32 v8, vcc, v8, v12
	v_addc_co_u32_e32 v11, vcc, 0, v11, vcc
	v_add_co_u32_e32 v8, vcc, v8, v10
	v_mul_hi_u32 v7, v5, v6
	v_addc_co_u32_e32 v8, vcc, v11, v9, vcc
	v_addc_co_u32_e32 v7, vcc, 0, v7, vcc
	v_mul_lo_u32 v6, v5, v6
	v_add_co_u32_e32 v6, vcc, v8, v6
	v_addc_co_u32_e32 v7, vcc, 0, v7, vcc
	v_add_co_u32_e32 v6, vcc, v4, v6
	v_addc_co_u32_e32 v7, vcc, v5, v7, vcc
	v_ashrrev_i32_e32 v8, 31, v3
	v_add_co_u32_e32 v4, vcc, v2, v8
	v_addc_co_u32_e32 v5, vcc, v3, v8, vcc
	v_xor_b32_e32 v10, v4, v8
	v_xor_b32_e32 v9, v5, v8
	v_mad_u64_u32 v[4:5], s[0:1], v10, v7, 0
	v_mul_hi_u32 v11, v10, v6
	v_add_co_u32_e32 v11, vcc, v11, v4
	v_addc_co_u32_e32 v12, vcc, 0, v5, vcc
	v_mad_u64_u32 v[4:5], s[0:1], v9, v7, 0
	v_mad_u64_u32 v[6:7], s[0:1], v9, v6, 0
	v_add_co_u32_e32 v6, vcc, v11, v6
	v_addc_co_u32_e32 v6, vcc, v12, v7, vcc
	v_addc_co_u32_e32 v5, vcc, 0, v5, vcc
	v_add_co_u32_e32 v6, vcc, v6, v4
	v_addc_co_u32_e32 v7, vcc, 0, v5, vcc
	v_mul_lo_u32 v11, s11, v6
	v_mul_lo_u32 v12, s10, v7
	v_mad_u64_u32 v[4:5], s[0:1], s10, v6, 0
	v_add3_u32 v5, v5, v12, v11
	v_sub_u32_e32 v11, v9, v5
	v_mov_b32_e32 v12, s11
	v_sub_co_u32_e32 v4, vcc, v10, v4
	v_subb_co_u32_e64 v10, s[0:1], v11, v12, vcc
	v_subrev_co_u32_e64 v11, s[0:1], s10, v4
	v_subbrev_co_u32_e64 v10, s[0:1], 0, v10, s[0:1]
	v_cmp_le_u32_e64 s[0:1], s11, v10
	v_cndmask_b32_e64 v12, 0, -1, s[0:1]
	v_cmp_le_u32_e64 s[0:1], s10, v11
	v_cndmask_b32_e64 v11, 0, -1, s[0:1]
	v_cmp_eq_u32_e64 s[0:1], s11, v10
	v_cndmask_b32_e64 v10, v12, v11, s[0:1]
	v_add_co_u32_e64 v11, s[0:1], 2, v6
	v_subb_co_u32_e32 v5, vcc, v9, v5, vcc
	v_addc_co_u32_e64 v12, s[0:1], 0, v7, s[0:1]
	v_cmp_le_u32_e32 vcc, s11, v5
	v_add_co_u32_e64 v13, s[0:1], 1, v6
	v_cndmask_b32_e64 v9, 0, -1, vcc
	v_cmp_le_u32_e32 vcc, s10, v4
	v_addc_co_u32_e64 v14, s[0:1], 0, v7, s[0:1]
	v_cndmask_b32_e64 v4, 0, -1, vcc
	v_cmp_eq_u32_e32 vcc, s11, v5
	v_cmp_ne_u32_e64 s[0:1], 0, v10
	v_cndmask_b32_e32 v4, v9, v4, vcc
	v_cndmask_b32_e64 v10, v14, v12, s[0:1]
	v_cmp_ne_u32_e32 vcc, 0, v4
	v_cndmask_b32_e64 v5, v13, v11, s[0:1]
	v_cndmask_b32_e32 v4, v7, v10, vcc
	v_cndmask_b32_e32 v5, v6, v5, vcc
	v_xor_b32_e32 v6, s8, v8
	v_xor_b32_e32 v7, v4, v6
	;; [unrolled: 1-line block ×3, first 2 shown]
	v_sub_co_u32_e32 v4, vcc, v4, v6
	v_subb_co_u32_e32 v5, vcc, v7, v6, vcc
.LBB38_4:
	s_andn2_saveexec_b64 s[0:1], s[6:7]
	s_cbranch_execz .LBB38_6
; %bb.5:
	v_cvt_f32_u32_e32 v4, s20
	s_sub_i32 s6, 0, s20
	v_rcp_iflag_f32_e32 v4, v4
	v_mul_f32_e32 v4, 0x4f7ffffe, v4
	v_cvt_u32_f32_e32 v4, v4
	v_mul_lo_u32 v5, s6, v4
	v_mul_hi_u32 v5, v4, v5
	v_add_u32_e32 v4, v4, v5
	v_mul_hi_u32 v4, v2, v4
	v_mul_lo_u32 v5, v4, s20
	v_sub_u32_e32 v5, v2, v5
	v_add_u32_e32 v6, 1, v4
	v_subrev_u32_e32 v7, s20, v5
	v_cmp_le_u32_e32 vcc, s20, v5
	v_cndmask_b32_e32 v5, v5, v7, vcc
	v_cndmask_b32_e32 v4, v4, v6, vcc
	v_add_u32_e32 v6, 1, v4
	v_cmp_le_u32_e32 vcc, s20, v5
	v_cndmask_b32_e32 v4, v4, v6, vcc
	v_mov_b32_e32 v5, 0
.LBB38_6:
	s_or_b64 exec, exec, s[0:1]
	v_mul_lo_u32 v5, v5, s20
	v_mul_lo_u32 v8, v4, s21
	v_mad_u64_u32 v[6:7], s[0:1], v4, s20, 0
	v_add3_u32 v7, v7, v8, v5
	v_sub_co_u32_e32 v5, vcc, v2, v6
	v_subb_co_u32_e32 v7, vcc, v3, v7, vcc
	v_or_b32_e32 v9, s15, v7
	v_mov_b32_e32 v8, 0
	v_cmp_ne_u64_e32 vcc, 0, v[8:9]
                                        ; implicit-def: $vgpr10_vgpr11
	s_and_saveexec_b64 s[0:1], vcc
	s_xor_b64 s[6:7], exec, s[0:1]
	s_cbranch_execz .LBB38_8
; %bb.7:
	s_ashr_i32 s8, s15, 31
	s_add_u32 s0, s14, s8
	s_mov_b32 s9, s8
	s_addc_u32 s1, s15, s8
	s_xor_b64 s[10:11], s[0:1], s[8:9]
	v_cvt_f32_u32_e32 v8, s10
	v_cvt_f32_u32_e32 v9, s11
	s_sub_u32 s0, 0, s10
	s_subb_u32 s1, 0, s11
	v_madmk_f32 v8, v9, 0x4f800000, v8
	v_rcp_f32_e32 v8, v8
	v_mul_f32_e32 v8, 0x5f7ffffc, v8
	v_mul_f32_e32 v9, 0x2f800000, v8
	v_trunc_f32_e32 v9, v9
	v_madmk_f32 v8, v9, 0xcf800000, v8
	v_cvt_u32_f32_e32 v9, v9
	v_cvt_u32_f32_e32 v8, v8
	v_mul_lo_u32 v10, s0, v9
	v_mul_hi_u32 v12, s0, v8
	v_mul_lo_u32 v11, s1, v8
	v_add_u32_e32 v10, v12, v10
	v_mul_lo_u32 v13, s0, v8
	v_add_u32_e32 v10, v10, v11
	v_mul_lo_u32 v12, v8, v10
	v_mul_hi_u32 v14, v8, v13
	v_mul_hi_u32 v11, v8, v10
	v_add_co_u32_e32 v12, vcc, v14, v12
	v_addc_co_u32_e32 v11, vcc, 0, v11, vcc
	v_mul_hi_u32 v15, v9, v13
	v_mul_lo_u32 v13, v9, v13
	v_add_co_u32_e32 v12, vcc, v12, v13
	v_mul_hi_u32 v14, v9, v10
	v_addc_co_u32_e32 v11, vcc, v11, v15, vcc
	v_addc_co_u32_e32 v12, vcc, 0, v14, vcc
	v_mul_lo_u32 v10, v9, v10
	v_add_co_u32_e32 v10, vcc, v11, v10
	v_addc_co_u32_e32 v11, vcc, 0, v12, vcc
	v_add_co_u32_e32 v8, vcc, v8, v10
	v_addc_co_u32_e32 v9, vcc, v9, v11, vcc
	v_mul_lo_u32 v10, s0, v9
	v_mul_hi_u32 v11, s0, v8
	v_add_u32_e32 v10, v11, v10
	v_mul_lo_u32 v11, s1, v8
	v_add_u32_e32 v10, v10, v11
	v_mul_lo_u32 v12, s0, v8
	v_mul_hi_u32 v13, v9, v12
	v_mul_lo_u32 v14, v9, v12
	v_mul_lo_u32 v16, v8, v10
	v_mul_hi_u32 v12, v8, v12
	v_mul_hi_u32 v15, v8, v10
	v_add_co_u32_e32 v12, vcc, v12, v16
	v_addc_co_u32_e32 v15, vcc, 0, v15, vcc
	v_add_co_u32_e32 v12, vcc, v12, v14
	v_mul_hi_u32 v11, v9, v10
	v_addc_co_u32_e32 v12, vcc, v15, v13, vcc
	v_addc_co_u32_e32 v11, vcc, 0, v11, vcc
	v_mul_lo_u32 v10, v9, v10
	v_add_co_u32_e32 v10, vcc, v12, v10
	v_addc_co_u32_e32 v11, vcc, 0, v11, vcc
	v_add_co_u32_e32 v10, vcc, v8, v10
	v_addc_co_u32_e32 v11, vcc, v9, v11, vcc
	v_ashrrev_i32_e32 v12, 31, v7
	v_add_co_u32_e32 v8, vcc, v5, v12
	v_addc_co_u32_e32 v9, vcc, v7, v12, vcc
	v_xor_b32_e32 v14, v8, v12
	v_xor_b32_e32 v13, v9, v12
	v_mad_u64_u32 v[8:9], s[0:1], v14, v11, 0
	v_mul_hi_u32 v15, v14, v10
	v_add_co_u32_e32 v15, vcc, v15, v8
	v_addc_co_u32_e32 v16, vcc, 0, v9, vcc
	v_mad_u64_u32 v[8:9], s[0:1], v13, v11, 0
	v_mad_u64_u32 v[10:11], s[0:1], v13, v10, 0
	v_add_co_u32_e32 v10, vcc, v15, v10
	v_addc_co_u32_e32 v10, vcc, v16, v11, vcc
	v_addc_co_u32_e32 v9, vcc, 0, v9, vcc
	v_add_co_u32_e32 v10, vcc, v10, v8
	v_addc_co_u32_e32 v11, vcc, 0, v9, vcc
	v_mul_lo_u32 v15, s11, v10
	v_mul_lo_u32 v16, s10, v11
	v_mad_u64_u32 v[8:9], s[0:1], s10, v10, 0
	v_add3_u32 v9, v9, v16, v15
	v_sub_u32_e32 v15, v13, v9
	v_mov_b32_e32 v16, s11
	v_sub_co_u32_e32 v8, vcc, v14, v8
	v_subb_co_u32_e64 v14, s[0:1], v15, v16, vcc
	v_subrev_co_u32_e64 v15, s[0:1], s10, v8
	v_subbrev_co_u32_e64 v14, s[0:1], 0, v14, s[0:1]
	v_cmp_le_u32_e64 s[0:1], s11, v14
	v_cndmask_b32_e64 v16, 0, -1, s[0:1]
	v_cmp_le_u32_e64 s[0:1], s10, v15
	v_cndmask_b32_e64 v15, 0, -1, s[0:1]
	v_cmp_eq_u32_e64 s[0:1], s11, v14
	v_cndmask_b32_e64 v14, v16, v15, s[0:1]
	v_add_co_u32_e64 v15, s[0:1], 2, v10
	v_subb_co_u32_e32 v9, vcc, v13, v9, vcc
	v_addc_co_u32_e64 v16, s[0:1], 0, v11, s[0:1]
	v_cmp_le_u32_e32 vcc, s11, v9
	v_add_co_u32_e64 v17, s[0:1], 1, v10
	v_cndmask_b32_e64 v13, 0, -1, vcc
	v_cmp_le_u32_e32 vcc, s10, v8
	v_addc_co_u32_e64 v18, s[0:1], 0, v11, s[0:1]
	v_cndmask_b32_e64 v8, 0, -1, vcc
	v_cmp_eq_u32_e32 vcc, s11, v9
	v_cmp_ne_u32_e64 s[0:1], 0, v14
	v_cndmask_b32_e32 v8, v13, v8, vcc
	v_cndmask_b32_e64 v14, v18, v16, s[0:1]
	v_cmp_ne_u32_e32 vcc, 0, v8
	v_cndmask_b32_e64 v9, v17, v15, s[0:1]
	v_cndmask_b32_e32 v8, v11, v14, vcc
	v_cndmask_b32_e32 v9, v10, v9, vcc
	v_xor_b32_e32 v11, s8, v12
	v_xor_b32_e32 v9, v9, v11
	;; [unrolled: 1-line block ×3, first 2 shown]
	v_sub_co_u32_e32 v10, vcc, v9, v11
	v_subb_co_u32_e32 v11, vcc, v8, v11, vcc
.LBB38_8:
	s_or_saveexec_b64 s[0:1], s[6:7]
	s_load_dword s2, s[2:3], 0x0
	s_xor_b64 exec, exec, s[0:1]
	s_cbranch_execz .LBB38_10
; %bb.9:
	v_cvt_f32_u32_e32 v8, s14
	s_sub_i32 s3, 0, s14
	v_rcp_iflag_f32_e32 v8, v8
	v_mul_f32_e32 v8, 0x4f7ffffe, v8
	v_cvt_u32_f32_e32 v8, v8
	v_mul_lo_u32 v9, s3, v8
	v_mul_hi_u32 v9, v8, v9
	v_add_u32_e32 v8, v8, v9
	v_mul_hi_u32 v8, v5, v8
	v_mul_lo_u32 v9, v8, s14
	v_sub_u32_e32 v9, v5, v9
	v_add_u32_e32 v10, 1, v8
	v_subrev_u32_e32 v11, s14, v9
	v_cmp_le_u32_e32 vcc, s14, v9
	v_cndmask_b32_e32 v9, v9, v11, vcc
	v_cndmask_b32_e32 v8, v8, v10, vcc
	v_add_u32_e32 v10, 1, v8
	v_cmp_le_u32_e32 vcc, s14, v9
	v_cndmask_b32_e32 v10, v8, v10, vcc
	v_mov_b32_e32 v11, 0
.LBB38_10:
	s_or_b64 exec, exec, s[0:1]
	s_load_dwordx8 s[36:43], s[4:5], 0x0
	s_load_dwordx2 s[0:1], s[4:5], 0x20
	v_lshlrev_b64 v[2:3], 2, v[2:3]
	v_ashrrev_i32_e32 v18, 31, v4
	v_mul_lo_u32 v14, v11, s16
	s_waitcnt lgkmcnt(0)
	v_mov_b32_e32 v9, s39
	v_add_co_u32_e32 v8, vcc, s38, v2
	v_addc_co_u32_e32 v9, vcc, v9, v3, vcc
	global_load_dword v12, v[8:9], off
	v_mov_b32_e32 v8, s1
	v_add_co_u32_e32 v2, vcc, s0, v2
	v_addc_co_u32_e32 v3, vcc, v8, v3, vcc
	global_load_dword v13, v[2:3], off
	v_mul_lo_u32 v8, v4, s23
	v_mul_lo_u32 v9, v18, s22
	v_mad_u64_u32 v[2:3], s[0:1], v4, s22, 0
	v_add3_u32 v3, v3, v8, v9
	v_lshlrev_b64 v[2:3], 2, v[2:3]
	v_mov_b32_e32 v8, s41
	v_add_co_u32_e32 v9, vcc, s40, v2
	v_addc_co_u32_e32 v8, vcc, v8, v3, vcc
	v_mul_lo_u32 v15, v10, s17
	v_mad_u64_u32 v[2:3], s[0:1], v10, s16, 0
	v_add3_u32 v3, v3, v15, v14
	v_lshlrev_b64 v[2:3], 2, v[2:3]
	v_add_co_u32_e32 v14, vcc, v9, v2
	v_addc_co_u32_e32 v15, vcc, v8, v3, vcc
	s_lshl_b64 s[0:1], s[16:17], 2
	v_mov_b32_e32 v3, s1
	v_add_co_u32_e32 v2, vcc, s0, v14
	v_addc_co_u32_e32 v3, vcc, v15, v3, vcc
	v_lshlrev_b64 v[0:1], 2, v[0:1]
	v_add_co_u32_e32 v8, vcc, v14, v0
	v_mul_lo_u32 v17, s16, v6
	v_mov_b32_e32 v16, 0
	v_addc_co_u32_e32 v9, vcc, v15, v1, vcc
	v_ashrrev_i64 v[16:17], 30, v[16:17]
	v_mov_b32_e32 v6, s37
	v_add_co_u32_e32 v19, vcc, s36, v16
	v_addc_co_u32_e32 v20, vcc, v6, v17, vcc
	v_mul_lo_u32 v6, v11, s14
	v_mul_lo_u32 v21, v10, s15
	v_mad_u64_u32 v[16:17], s[0:1], v10, s14, 0
	v_add3_u32 v6, v17, v21, v6
	v_sub_co_u32_e32 v16, vcc, v5, v16
	v_subb_co_u32_e32 v17, vcc, v7, v6, vcc
	v_mul_lo_u32 v5, v16, s13
	v_mul_lo_u32 v21, v17, s12
	v_mad_u64_u32 v[6:7], s[0:1], v16, s12, v[10:11]
	v_add3_u32 v5, v21, v7, v5
	v_mul_lo_u32 v5, v5, s16
	v_mul_lo_u32 v10, v6, s17
	v_mad_u64_u32 v[6:7], s[0:1], v6, s16, 0
	v_add3_u32 v7, v7, v10, v5
	v_lshlrev_b64 v[6:7], 2, v[6:7]
	v_add_co_u32_e32 v5, vcc, v19, v6
	v_addc_co_u32_e32 v6, vcc, v20, v7, vcc
	v_mul_lo_u32 v7, v4, s25
	v_mul_lo_u32 v18, v18, s24
	v_mad_u64_u32 v[10:11], s[0:1], v4, s24, 0
	v_add3_u32 v11, v11, v7, v18
	v_lshlrev_b64 v[10:11], 2, v[10:11]
	v_mov_b32_e32 v4, s43
	v_add_co_u32_e32 v7, vcc, s42, v10
	v_addc_co_u32_e32 v18, vcc, v4, v11, vcc
	v_mul_lo_u32 v4, v17, s16
	v_mul_lo_u32 v17, v16, s17
	v_mad_u64_u32 v[10:11], s[0:1], v16, s16, 0
	v_add3_u32 v11, v11, v17, v4
	v_lshlrev_b64 v[10:11], 2, v[10:11]
	s_mul_i32 s2, s2, s18
	v_add_co_u32_e32 v4, vcc, v7, v10
	s_ashr_i32 s3, s2, 31
	v_addc_co_u32_e32 v7, vcc, v18, v11, vcc
	s_waitcnt vmcnt(0)
	v_cmp_neq_f32_e64 s[0:1], 0, v13
	s_lshl_b64 s[2:3], s[2:3], 2
	s_mov_b64 s[4:5], 0
	s_branch .LBB38_12
.LBB38_11:                              ;   in Loop: Header=BB38_12 Depth=1
	s_or_b64 exec, exec, s[6:7]
	v_add_co_u32_e32 v16, vcc, v5, v0
	v_addc_co_u32_e32 v17, vcc, v6, v1, vcc
	global_store_dword v[16:17], v10, off
	v_mov_b32_e32 v10, s3
	v_add_co_u32_e32 v8, vcc, s2, v8
	v_addc_co_u32_e32 v9, vcc, v9, v10, vcc
	v_cmp_ge_u64_e32 vcc, v[8:9], v[2:3]
	s_or_b64 s[4:5], vcc, s[4:5]
	v_add_co_u32_e32 v0, vcc, s2, v0
	v_addc_co_u32_e32 v1, vcc, v1, v10, vcc
	s_andn2_b64 exec, exec, s[4:5]
	s_cbranch_execz .LBB38_14
.LBB38_12:                              ; =>This Inner Loop Header: Depth=1
	v_mov_b32_e32 v10, 0
	s_and_saveexec_b64 s[6:7], s[0:1]
	s_cbranch_execz .LBB38_11
; %bb.13:                               ;   in Loop: Header=BB38_12 Depth=1
	v_add_co_u32_e32 v10, vcc, v4, v0
	v_addc_co_u32_e32 v11, vcc, v7, v1, vcc
	v_add_co_u32_e32 v16, vcc, v14, v0
	v_addc_co_u32_e32 v17, vcc, v15, v1, vcc
	global_load_dword v18, v[16:17], off
	global_load_dword v19, v[10:11], off
	s_waitcnt vmcnt(0)
	v_sub_f32_e32 v10, v18, v19
	v_mul_f32_e32 v10, v12, v10
	v_div_scale_f32 v11, s[8:9], v13, v13, v10
	v_rcp_f32_e32 v16, v11
	v_div_scale_f32 v17, vcc, v10, v13, v10
	v_fma_f32 v18, -v11, v16, 1.0
	v_fmac_f32_e32 v16, v18, v16
	v_mul_f32_e32 v18, v17, v16
	v_fma_f32 v19, -v11, v18, v17
	v_fmac_f32_e32 v18, v19, v16
	v_fma_f32 v11, -v11, v18, v17
	v_div_fmas_f32 v11, v11, v16, v18
	v_div_fixup_f32 v10, v11, v13, v10
	s_branch .LBB38_11
.LBB38_14:
	s_endpgm
	.section	.rodata,"a",@progbits
	.p2align	6, 0x0
	.amdhsa_kernel _ZN2at6native12_GLOBAL__N_131cdist_backward_kernel_cuda_implIfNS1_5distsIfE3twoEEEvPT_PKS6_S9_S9_S9_S6_lllllll
		.amdhsa_group_segment_fixed_size 0
		.amdhsa_private_segment_fixed_size 0
		.amdhsa_kernarg_size 360
		.amdhsa_user_sgpr_count 6
		.amdhsa_user_sgpr_private_segment_buffer 1
		.amdhsa_user_sgpr_dispatch_ptr 0
		.amdhsa_user_sgpr_queue_ptr 0
		.amdhsa_user_sgpr_kernarg_segment_ptr 1
		.amdhsa_user_sgpr_dispatch_id 0
		.amdhsa_user_sgpr_flat_scratch_init 0
		.amdhsa_user_sgpr_kernarg_preload_length 0
		.amdhsa_user_sgpr_kernarg_preload_offset 0
		.amdhsa_user_sgpr_private_segment_size 0
		.amdhsa_uses_dynamic_stack 0
		.amdhsa_system_sgpr_private_segment_wavefront_offset 0
		.amdhsa_system_sgpr_workgroup_id_x 1
		.amdhsa_system_sgpr_workgroup_id_y 1
		.amdhsa_system_sgpr_workgroup_id_z 1
		.amdhsa_system_sgpr_workgroup_info 0
		.amdhsa_system_vgpr_workitem_id 1
		.amdhsa_next_free_vgpr 22
		.amdhsa_next_free_sgpr 44
		.amdhsa_accum_offset 24
		.amdhsa_reserve_vcc 1
		.amdhsa_reserve_flat_scratch 0
		.amdhsa_float_round_mode_32 0
		.amdhsa_float_round_mode_16_64 0
		.amdhsa_float_denorm_mode_32 3
		.amdhsa_float_denorm_mode_16_64 3
		.amdhsa_dx10_clamp 1
		.amdhsa_ieee_mode 1
		.amdhsa_fp16_overflow 0
		.amdhsa_tg_split 0
		.amdhsa_exception_fp_ieee_invalid_op 0
		.amdhsa_exception_fp_denorm_src 0
		.amdhsa_exception_fp_ieee_div_zero 0
		.amdhsa_exception_fp_ieee_overflow 0
		.amdhsa_exception_fp_ieee_underflow 0
		.amdhsa_exception_fp_ieee_inexact 0
		.amdhsa_exception_int_div_zero 0
	.end_amdhsa_kernel
	.section	.text._ZN2at6native12_GLOBAL__N_131cdist_backward_kernel_cuda_implIfNS1_5distsIfE3twoEEEvPT_PKS6_S9_S9_S9_S6_lllllll,"axG",@progbits,_ZN2at6native12_GLOBAL__N_131cdist_backward_kernel_cuda_implIfNS1_5distsIfE3twoEEEvPT_PKS6_S9_S9_S9_S6_lllllll,comdat
.Lfunc_end38:
	.size	_ZN2at6native12_GLOBAL__N_131cdist_backward_kernel_cuda_implIfNS1_5distsIfE3twoEEEvPT_PKS6_S9_S9_S9_S6_lllllll, .Lfunc_end38-_ZN2at6native12_GLOBAL__N_131cdist_backward_kernel_cuda_implIfNS1_5distsIfE3twoEEEvPT_PKS6_S9_S9_S9_S6_lllllll
                                        ; -- End function
	.section	.AMDGPU.csdata,"",@progbits
; Kernel info:
; codeLenInByte = 2484
; NumSgprs: 48
; NumVgprs: 22
; NumAgprs: 0
; TotalNumVgprs: 22
; ScratchSize: 0
; MemoryBound: 0
; FloatMode: 240
; IeeeMode: 1
; LDSByteSize: 0 bytes/workgroup (compile time only)
; SGPRBlocks: 5
; VGPRBlocks: 2
; NumSGPRsForWavesPerEU: 48
; NumVGPRsForWavesPerEU: 22
; AccumOffset: 24
; Occupancy: 8
; WaveLimiterHint : 0
; COMPUTE_PGM_RSRC2:SCRATCH_EN: 0
; COMPUTE_PGM_RSRC2:USER_SGPR: 6
; COMPUTE_PGM_RSRC2:TRAP_HANDLER: 0
; COMPUTE_PGM_RSRC2:TGID_X_EN: 1
; COMPUTE_PGM_RSRC2:TGID_Y_EN: 1
; COMPUTE_PGM_RSRC2:TGID_Z_EN: 1
; COMPUTE_PGM_RSRC2:TIDIG_COMP_CNT: 1
; COMPUTE_PGM_RSRC3_GFX90A:ACCUM_OFFSET: 5
; COMPUTE_PGM_RSRC3_GFX90A:TG_SPLIT: 0
	.section	.text._ZN2at6native12_GLOBAL__N_131cdist_backward_kernel_cuda_implIfNS1_5distsIfE3infEEEvPT_PKS6_S9_S9_S9_S6_lllllll,"axG",@progbits,_ZN2at6native12_GLOBAL__N_131cdist_backward_kernel_cuda_implIfNS1_5distsIfE3infEEEvPT_PKS6_S9_S9_S9_S6_lllllll,comdat
	.globl	_ZN2at6native12_GLOBAL__N_131cdist_backward_kernel_cuda_implIfNS1_5distsIfE3infEEEvPT_PKS6_S9_S9_S9_S6_lllllll ; -- Begin function _ZN2at6native12_GLOBAL__N_131cdist_backward_kernel_cuda_implIfNS1_5distsIfE3infEEEvPT_PKS6_S9_S9_S9_S6_lllllll
	.p2align	8
	.type	_ZN2at6native12_GLOBAL__N_131cdist_backward_kernel_cuda_implIfNS1_5distsIfE3infEEEvPT_PKS6_S9_S9_S9_S6_lllllll,@function
_ZN2at6native12_GLOBAL__N_131cdist_backward_kernel_cuda_implIfNS1_5distsIfE3infEEEvPT_PKS6_S9_S9_S9_S6_lllllll: ; @_ZN2at6native12_GLOBAL__N_131cdist_backward_kernel_cuda_implIfNS1_5distsIfE3infEEEvPT_PKS6_S9_S9_S9_S6_lllllll
; %bb.0:
	s_load_dwordx2 s[0:1], s[4:5], 0x70
	s_load_dwordx8 s[12:19], s[4:5], 0x30
	s_add_u32 s2, s4, 0x68
	s_addc_u32 s3, s5, 0
	v_bfe_u32 v1, v0, 10, 10
	s_waitcnt lgkmcnt(0)
	s_mul_i32 s0, s0, s7
	s_add_i32 s0, s0, s8
	s_lshr_b32 s7, s1, 16
	s_mul_i32 s0, s0, s7
	v_add_u32_e32 v2, s0, v1
	v_ashrrev_i32_e32 v3, 31, v2
	v_cmp_gt_i64_e32 vcc, s[18:19], v[2:3]
	s_and_saveexec_b64 s[8:9], vcc
	s_cbranch_execz .LBB39_12
; %bb.1:
	s_load_dwordx8 s[20:27], s[4:5], 0x50
	s_and_b32 s18, s1, 0xffff
	s_mul_i32 s6, s6, s18
	v_and_b32_e32 v0, 0x3ff, v0
	v_add_u32_e32 v0, s6, v0
	v_ashrrev_i32_e32 v1, 31, v0
	v_cmp_gt_i64_e32 vcc, s[16:17], v[0:1]
	s_and_b64 exec, exec, vcc
	s_cbranch_execz .LBB39_12
; %bb.2:
	s_waitcnt lgkmcnt(0)
	v_or_b32_e32 v5, s21, v3
	v_mov_b32_e32 v4, 0
	v_cmp_ne_u64_e32 vcc, 0, v[4:5]
                                        ; implicit-def: $vgpr4_vgpr5
	s_and_saveexec_b64 s[0:1], vcc
	s_xor_b64 s[6:7], exec, s[0:1]
	s_cbranch_execz .LBB39_4
; %bb.3:
	s_ashr_i32 s8, s21, 31
	s_add_u32 s0, s20, s8
	s_mov_b32 s9, s8
	s_addc_u32 s1, s21, s8
	s_xor_b64 s[10:11], s[0:1], s[8:9]
	v_cvt_f32_u32_e32 v4, s10
	v_cvt_f32_u32_e32 v5, s11
	s_sub_u32 s0, 0, s10
	s_subb_u32 s1, 0, s11
	v_madmk_f32 v4, v5, 0x4f800000, v4
	v_rcp_f32_e32 v4, v4
	v_mul_f32_e32 v4, 0x5f7ffffc, v4
	v_mul_f32_e32 v5, 0x2f800000, v4
	v_trunc_f32_e32 v5, v5
	v_madmk_f32 v4, v5, 0xcf800000, v4
	v_cvt_u32_f32_e32 v5, v5
	v_cvt_u32_f32_e32 v4, v4
	v_mul_lo_u32 v6, s0, v5
	v_mul_hi_u32 v8, s0, v4
	v_mul_lo_u32 v7, s1, v4
	v_add_u32_e32 v6, v8, v6
	v_mul_lo_u32 v9, s0, v4
	v_add_u32_e32 v6, v6, v7
	v_mul_lo_u32 v8, v4, v6
	v_mul_hi_u32 v10, v4, v9
	v_mul_hi_u32 v7, v4, v6
	v_add_co_u32_e32 v8, vcc, v10, v8
	v_addc_co_u32_e32 v7, vcc, 0, v7, vcc
	v_mul_hi_u32 v11, v5, v9
	v_mul_lo_u32 v9, v5, v9
	v_add_co_u32_e32 v8, vcc, v8, v9
	v_mul_hi_u32 v10, v5, v6
	v_addc_co_u32_e32 v7, vcc, v7, v11, vcc
	v_addc_co_u32_e32 v8, vcc, 0, v10, vcc
	v_mul_lo_u32 v6, v5, v6
	v_add_co_u32_e32 v6, vcc, v7, v6
	v_addc_co_u32_e32 v7, vcc, 0, v8, vcc
	v_add_co_u32_e32 v4, vcc, v4, v6
	v_addc_co_u32_e32 v5, vcc, v5, v7, vcc
	v_mul_lo_u32 v6, s0, v5
	v_mul_hi_u32 v7, s0, v4
	v_add_u32_e32 v6, v7, v6
	v_mul_lo_u32 v7, s1, v4
	v_add_u32_e32 v6, v6, v7
	v_mul_lo_u32 v8, s0, v4
	v_mul_hi_u32 v9, v5, v8
	v_mul_lo_u32 v10, v5, v8
	v_mul_lo_u32 v12, v4, v6
	v_mul_hi_u32 v8, v4, v8
	v_mul_hi_u32 v11, v4, v6
	v_add_co_u32_e32 v8, vcc, v8, v12
	v_addc_co_u32_e32 v11, vcc, 0, v11, vcc
	v_add_co_u32_e32 v8, vcc, v8, v10
	v_mul_hi_u32 v7, v5, v6
	v_addc_co_u32_e32 v8, vcc, v11, v9, vcc
	v_addc_co_u32_e32 v7, vcc, 0, v7, vcc
	v_mul_lo_u32 v6, v5, v6
	v_add_co_u32_e32 v6, vcc, v8, v6
	v_addc_co_u32_e32 v7, vcc, 0, v7, vcc
	v_add_co_u32_e32 v6, vcc, v4, v6
	v_addc_co_u32_e32 v7, vcc, v5, v7, vcc
	v_ashrrev_i32_e32 v8, 31, v3
	v_add_co_u32_e32 v4, vcc, v2, v8
	v_addc_co_u32_e32 v5, vcc, v3, v8, vcc
	v_xor_b32_e32 v10, v4, v8
	v_xor_b32_e32 v9, v5, v8
	v_mad_u64_u32 v[4:5], s[0:1], v10, v7, 0
	v_mul_hi_u32 v11, v10, v6
	v_add_co_u32_e32 v11, vcc, v11, v4
	v_addc_co_u32_e32 v12, vcc, 0, v5, vcc
	v_mad_u64_u32 v[4:5], s[0:1], v9, v7, 0
	v_mad_u64_u32 v[6:7], s[0:1], v9, v6, 0
	v_add_co_u32_e32 v6, vcc, v11, v6
	v_addc_co_u32_e32 v6, vcc, v12, v7, vcc
	v_addc_co_u32_e32 v5, vcc, 0, v5, vcc
	v_add_co_u32_e32 v6, vcc, v6, v4
	v_addc_co_u32_e32 v7, vcc, 0, v5, vcc
	v_mul_lo_u32 v11, s11, v6
	v_mul_lo_u32 v12, s10, v7
	v_mad_u64_u32 v[4:5], s[0:1], s10, v6, 0
	v_add3_u32 v5, v5, v12, v11
	v_sub_u32_e32 v11, v9, v5
	v_mov_b32_e32 v12, s11
	v_sub_co_u32_e32 v4, vcc, v10, v4
	v_subb_co_u32_e64 v10, s[0:1], v11, v12, vcc
	v_subrev_co_u32_e64 v11, s[0:1], s10, v4
	v_subbrev_co_u32_e64 v10, s[0:1], 0, v10, s[0:1]
	v_cmp_le_u32_e64 s[0:1], s11, v10
	v_cndmask_b32_e64 v12, 0, -1, s[0:1]
	v_cmp_le_u32_e64 s[0:1], s10, v11
	v_cndmask_b32_e64 v11, 0, -1, s[0:1]
	v_cmp_eq_u32_e64 s[0:1], s11, v10
	v_cndmask_b32_e64 v10, v12, v11, s[0:1]
	v_add_co_u32_e64 v11, s[0:1], 2, v6
	v_subb_co_u32_e32 v5, vcc, v9, v5, vcc
	v_addc_co_u32_e64 v12, s[0:1], 0, v7, s[0:1]
	v_cmp_le_u32_e32 vcc, s11, v5
	v_add_co_u32_e64 v13, s[0:1], 1, v6
	v_cndmask_b32_e64 v9, 0, -1, vcc
	v_cmp_le_u32_e32 vcc, s10, v4
	v_addc_co_u32_e64 v14, s[0:1], 0, v7, s[0:1]
	v_cndmask_b32_e64 v4, 0, -1, vcc
	v_cmp_eq_u32_e32 vcc, s11, v5
	v_cmp_ne_u32_e64 s[0:1], 0, v10
	v_cndmask_b32_e32 v4, v9, v4, vcc
	v_cndmask_b32_e64 v10, v14, v12, s[0:1]
	v_cmp_ne_u32_e32 vcc, 0, v4
	v_cndmask_b32_e64 v5, v13, v11, s[0:1]
	v_cndmask_b32_e32 v4, v7, v10, vcc
	v_cndmask_b32_e32 v5, v6, v5, vcc
	v_xor_b32_e32 v6, s8, v8
	v_xor_b32_e32 v7, v4, v6
	;; [unrolled: 1-line block ×3, first 2 shown]
	v_sub_co_u32_e32 v4, vcc, v4, v6
	v_subb_co_u32_e32 v5, vcc, v7, v6, vcc
.LBB39_4:
	s_andn2_saveexec_b64 s[0:1], s[6:7]
	s_cbranch_execz .LBB39_6
; %bb.5:
	v_cvt_f32_u32_e32 v4, s20
	s_sub_i32 s6, 0, s20
	v_rcp_iflag_f32_e32 v4, v4
	v_mul_f32_e32 v4, 0x4f7ffffe, v4
	v_cvt_u32_f32_e32 v4, v4
	v_mul_lo_u32 v5, s6, v4
	v_mul_hi_u32 v5, v4, v5
	v_add_u32_e32 v4, v4, v5
	v_mul_hi_u32 v4, v2, v4
	v_mul_lo_u32 v5, v4, s20
	v_sub_u32_e32 v5, v2, v5
	v_add_u32_e32 v6, 1, v4
	v_subrev_u32_e32 v7, s20, v5
	v_cmp_le_u32_e32 vcc, s20, v5
	v_cndmask_b32_e32 v5, v5, v7, vcc
	v_cndmask_b32_e32 v4, v4, v6, vcc
	v_add_u32_e32 v6, 1, v4
	v_cmp_le_u32_e32 vcc, s20, v5
	v_cndmask_b32_e32 v4, v4, v6, vcc
	v_mov_b32_e32 v5, 0
.LBB39_6:
	s_or_b64 exec, exec, s[0:1]
	v_mul_lo_u32 v5, v5, s20
	v_mul_lo_u32 v8, v4, s21
	v_mad_u64_u32 v[6:7], s[0:1], v4, s20, 0
	v_add3_u32 v7, v7, v8, v5
	v_sub_co_u32_e32 v5, vcc, v2, v6
	v_subb_co_u32_e32 v7, vcc, v3, v7, vcc
	v_or_b32_e32 v9, s15, v7
	v_mov_b32_e32 v8, 0
	v_cmp_ne_u64_e32 vcc, 0, v[8:9]
                                        ; implicit-def: $vgpr10_vgpr11
	s_and_saveexec_b64 s[0:1], vcc
	s_xor_b64 s[6:7], exec, s[0:1]
	s_cbranch_execz .LBB39_8
; %bb.7:
	s_ashr_i32 s8, s15, 31
	s_add_u32 s0, s14, s8
	s_mov_b32 s9, s8
	s_addc_u32 s1, s15, s8
	s_xor_b64 s[10:11], s[0:1], s[8:9]
	v_cvt_f32_u32_e32 v8, s10
	v_cvt_f32_u32_e32 v9, s11
	s_sub_u32 s0, 0, s10
	s_subb_u32 s1, 0, s11
	v_madmk_f32 v8, v9, 0x4f800000, v8
	v_rcp_f32_e32 v8, v8
	v_mul_f32_e32 v8, 0x5f7ffffc, v8
	v_mul_f32_e32 v9, 0x2f800000, v8
	v_trunc_f32_e32 v9, v9
	v_madmk_f32 v8, v9, 0xcf800000, v8
	v_cvt_u32_f32_e32 v9, v9
	v_cvt_u32_f32_e32 v8, v8
	v_mul_lo_u32 v10, s0, v9
	v_mul_hi_u32 v12, s0, v8
	v_mul_lo_u32 v11, s1, v8
	v_add_u32_e32 v10, v12, v10
	v_mul_lo_u32 v13, s0, v8
	v_add_u32_e32 v10, v10, v11
	v_mul_lo_u32 v12, v8, v10
	v_mul_hi_u32 v14, v8, v13
	v_mul_hi_u32 v11, v8, v10
	v_add_co_u32_e32 v12, vcc, v14, v12
	v_addc_co_u32_e32 v11, vcc, 0, v11, vcc
	v_mul_hi_u32 v15, v9, v13
	v_mul_lo_u32 v13, v9, v13
	v_add_co_u32_e32 v12, vcc, v12, v13
	v_mul_hi_u32 v14, v9, v10
	v_addc_co_u32_e32 v11, vcc, v11, v15, vcc
	v_addc_co_u32_e32 v12, vcc, 0, v14, vcc
	v_mul_lo_u32 v10, v9, v10
	v_add_co_u32_e32 v10, vcc, v11, v10
	v_addc_co_u32_e32 v11, vcc, 0, v12, vcc
	v_add_co_u32_e32 v8, vcc, v8, v10
	v_addc_co_u32_e32 v9, vcc, v9, v11, vcc
	v_mul_lo_u32 v10, s0, v9
	v_mul_hi_u32 v11, s0, v8
	v_add_u32_e32 v10, v11, v10
	v_mul_lo_u32 v11, s1, v8
	v_add_u32_e32 v10, v10, v11
	v_mul_lo_u32 v12, s0, v8
	v_mul_hi_u32 v13, v9, v12
	v_mul_lo_u32 v14, v9, v12
	v_mul_lo_u32 v16, v8, v10
	v_mul_hi_u32 v12, v8, v12
	v_mul_hi_u32 v15, v8, v10
	v_add_co_u32_e32 v12, vcc, v12, v16
	v_addc_co_u32_e32 v15, vcc, 0, v15, vcc
	v_add_co_u32_e32 v12, vcc, v12, v14
	v_mul_hi_u32 v11, v9, v10
	v_addc_co_u32_e32 v12, vcc, v15, v13, vcc
	v_addc_co_u32_e32 v11, vcc, 0, v11, vcc
	v_mul_lo_u32 v10, v9, v10
	v_add_co_u32_e32 v10, vcc, v12, v10
	v_addc_co_u32_e32 v11, vcc, 0, v11, vcc
	v_add_co_u32_e32 v10, vcc, v8, v10
	v_addc_co_u32_e32 v11, vcc, v9, v11, vcc
	v_ashrrev_i32_e32 v12, 31, v7
	v_add_co_u32_e32 v8, vcc, v5, v12
	v_addc_co_u32_e32 v9, vcc, v7, v12, vcc
	v_xor_b32_e32 v14, v8, v12
	v_xor_b32_e32 v13, v9, v12
	v_mad_u64_u32 v[8:9], s[0:1], v14, v11, 0
	v_mul_hi_u32 v15, v14, v10
	v_add_co_u32_e32 v15, vcc, v15, v8
	v_addc_co_u32_e32 v16, vcc, 0, v9, vcc
	v_mad_u64_u32 v[8:9], s[0:1], v13, v11, 0
	v_mad_u64_u32 v[10:11], s[0:1], v13, v10, 0
	v_add_co_u32_e32 v10, vcc, v15, v10
	v_addc_co_u32_e32 v10, vcc, v16, v11, vcc
	v_addc_co_u32_e32 v9, vcc, 0, v9, vcc
	v_add_co_u32_e32 v10, vcc, v10, v8
	v_addc_co_u32_e32 v11, vcc, 0, v9, vcc
	v_mul_lo_u32 v15, s11, v10
	v_mul_lo_u32 v16, s10, v11
	v_mad_u64_u32 v[8:9], s[0:1], s10, v10, 0
	v_add3_u32 v9, v9, v16, v15
	v_sub_u32_e32 v15, v13, v9
	v_mov_b32_e32 v16, s11
	v_sub_co_u32_e32 v8, vcc, v14, v8
	v_subb_co_u32_e64 v14, s[0:1], v15, v16, vcc
	v_subrev_co_u32_e64 v15, s[0:1], s10, v8
	v_subbrev_co_u32_e64 v14, s[0:1], 0, v14, s[0:1]
	v_cmp_le_u32_e64 s[0:1], s11, v14
	v_cndmask_b32_e64 v16, 0, -1, s[0:1]
	v_cmp_le_u32_e64 s[0:1], s10, v15
	v_cndmask_b32_e64 v15, 0, -1, s[0:1]
	v_cmp_eq_u32_e64 s[0:1], s11, v14
	v_cndmask_b32_e64 v14, v16, v15, s[0:1]
	v_add_co_u32_e64 v15, s[0:1], 2, v10
	v_subb_co_u32_e32 v9, vcc, v13, v9, vcc
	v_addc_co_u32_e64 v16, s[0:1], 0, v11, s[0:1]
	v_cmp_le_u32_e32 vcc, s11, v9
	v_add_co_u32_e64 v17, s[0:1], 1, v10
	v_cndmask_b32_e64 v13, 0, -1, vcc
	v_cmp_le_u32_e32 vcc, s10, v8
	v_addc_co_u32_e64 v18, s[0:1], 0, v11, s[0:1]
	v_cndmask_b32_e64 v8, 0, -1, vcc
	v_cmp_eq_u32_e32 vcc, s11, v9
	v_cmp_ne_u32_e64 s[0:1], 0, v14
	v_cndmask_b32_e32 v8, v13, v8, vcc
	v_cndmask_b32_e64 v14, v18, v16, s[0:1]
	v_cmp_ne_u32_e32 vcc, 0, v8
	v_cndmask_b32_e64 v9, v17, v15, s[0:1]
	v_cndmask_b32_e32 v8, v11, v14, vcc
	v_cndmask_b32_e32 v9, v10, v9, vcc
	v_xor_b32_e32 v11, s8, v12
	v_xor_b32_e32 v9, v9, v11
	;; [unrolled: 1-line block ×3, first 2 shown]
	v_sub_co_u32_e32 v10, vcc, v9, v11
	v_subb_co_u32_e32 v11, vcc, v8, v11, vcc
.LBB39_8:
	s_or_saveexec_b64 s[0:1], s[6:7]
	s_load_dword s2, s[2:3], 0x0
	s_xor_b64 exec, exec, s[0:1]
	s_cbranch_execz .LBB39_10
; %bb.9:
	v_cvt_f32_u32_e32 v8, s14
	s_sub_i32 s3, 0, s14
	v_rcp_iflag_f32_e32 v8, v8
	v_mul_f32_e32 v8, 0x4f7ffffe, v8
	v_cvt_u32_f32_e32 v8, v8
	v_mul_lo_u32 v9, s3, v8
	v_mul_hi_u32 v9, v8, v9
	v_add_u32_e32 v8, v8, v9
	v_mul_hi_u32 v8, v5, v8
	v_mul_lo_u32 v9, v8, s14
	v_sub_u32_e32 v9, v5, v9
	v_add_u32_e32 v10, 1, v8
	v_subrev_u32_e32 v11, s14, v9
	v_cmp_le_u32_e32 vcc, s14, v9
	v_cndmask_b32_e32 v9, v9, v11, vcc
	v_cndmask_b32_e32 v8, v8, v10, vcc
	v_add_u32_e32 v10, 1, v8
	v_cmp_le_u32_e32 vcc, s14, v9
	v_cndmask_b32_e32 v10, v8, v10, vcc
	v_mov_b32_e32 v11, 0
.LBB39_10:
	s_or_b64 exec, exec, s[0:1]
	s_load_dwordx8 s[36:43], s[4:5], 0x0
	s_load_dwordx2 s[0:1], s[4:5], 0x20
	v_lshlrev_b64 v[2:3], 2, v[2:3]
	v_ashrrev_i32_e32 v18, 31, v4
	v_mul_lo_u32 v14, v11, s16
	s_waitcnt lgkmcnt(0)
	v_mov_b32_e32 v9, s39
	v_add_co_u32_e32 v8, vcc, s38, v2
	v_addc_co_u32_e32 v9, vcc, v9, v3, vcc
	global_load_dword v12, v[8:9], off
	v_mov_b32_e32 v8, s1
	v_add_co_u32_e32 v2, vcc, s0, v2
	v_addc_co_u32_e32 v3, vcc, v8, v3, vcc
	global_load_dword v13, v[2:3], off
	v_mul_lo_u32 v8, v4, s23
	v_mul_lo_u32 v9, v18, s22
	v_mad_u64_u32 v[2:3], s[0:1], v4, s22, 0
	v_add3_u32 v3, v3, v8, v9
	v_lshlrev_b64 v[2:3], 2, v[2:3]
	v_mov_b32_e32 v8, s41
	v_add_co_u32_e32 v9, vcc, s40, v2
	v_addc_co_u32_e32 v8, vcc, v8, v3, vcc
	v_mul_lo_u32 v15, v10, s17
	v_mad_u64_u32 v[2:3], s[0:1], v10, s16, 0
	v_add3_u32 v3, v3, v15, v14
	v_lshlrev_b64 v[2:3], 2, v[2:3]
	v_add_co_u32_e32 v14, vcc, v9, v2
	v_addc_co_u32_e32 v15, vcc, v8, v3, vcc
	s_lshl_b64 s[0:1], s[16:17], 2
	v_mov_b32_e32 v3, s1
	v_add_co_u32_e32 v2, vcc, s0, v14
	v_addc_co_u32_e32 v3, vcc, v15, v3, vcc
	v_lshlrev_b64 v[0:1], 2, v[0:1]
	v_add_co_u32_e32 v8, vcc, v14, v0
	v_mul_lo_u32 v17, s16, v6
	v_mov_b32_e32 v16, 0
	v_addc_co_u32_e32 v9, vcc, v15, v1, vcc
	v_ashrrev_i64 v[16:17], 30, v[16:17]
	v_mov_b32_e32 v6, s37
	v_add_co_u32_e32 v19, vcc, s36, v16
	v_addc_co_u32_e32 v20, vcc, v6, v17, vcc
	v_mul_lo_u32 v6, v11, s14
	v_mul_lo_u32 v21, v10, s15
	v_mad_u64_u32 v[16:17], s[0:1], v10, s14, 0
	v_add3_u32 v6, v17, v21, v6
	v_sub_co_u32_e32 v16, vcc, v5, v16
	v_subb_co_u32_e32 v17, vcc, v7, v6, vcc
	v_mul_lo_u32 v5, v16, s13
	v_mul_lo_u32 v21, v17, s12
	v_mad_u64_u32 v[6:7], s[0:1], v16, s12, v[10:11]
	v_add3_u32 v5, v21, v7, v5
	v_mul_lo_u32 v5, v5, s16
	v_mul_lo_u32 v10, v6, s17
	v_mad_u64_u32 v[6:7], s[0:1], v6, s16, 0
	v_add3_u32 v7, v7, v10, v5
	v_lshlrev_b64 v[6:7], 2, v[6:7]
	v_add_co_u32_e32 v5, vcc, v19, v6
	v_addc_co_u32_e32 v6, vcc, v20, v7, vcc
	v_mul_lo_u32 v7, v4, s25
	v_mul_lo_u32 v18, v18, s24
	v_mad_u64_u32 v[10:11], s[0:1], v4, s24, 0
	v_add3_u32 v11, v11, v7, v18
	v_lshlrev_b64 v[10:11], 2, v[10:11]
	v_mov_b32_e32 v4, s43
	v_add_co_u32_e32 v7, vcc, s42, v10
	v_addc_co_u32_e32 v18, vcc, v4, v11, vcc
	v_mul_lo_u32 v4, v17, s16
	v_mul_lo_u32 v17, v16, s17
	v_mad_u64_u32 v[10:11], s[0:1], v16, s16, 0
	v_add3_u32 v11, v11, v17, v4
	v_lshlrev_b64 v[10:11], 2, v[10:11]
	s_mul_i32 s0, s2, s18
	v_add_co_u32_e32 v4, vcc, v7, v10
	s_ashr_i32 s1, s0, 31
	v_addc_co_u32_e32 v7, vcc, v18, v11, vcc
	s_lshl_b64 s[2:3], s[0:1], 2
	s_mov_b64 s[4:5], 0
.LBB39_11:                              ; =>This Inner Loop Header: Depth=1
	v_add_co_u32_e32 v10, vcc, v4, v0
	v_addc_co_u32_e32 v11, vcc, v7, v1, vcc
	v_add_co_u32_e32 v16, vcc, v14, v0
	v_addc_co_u32_e32 v17, vcc, v15, v1, vcc
	global_load_dword v18, v[16:17], off
	global_load_dword v19, v[10:11], off
	v_add_co_u32_e32 v10, vcc, v5, v0
	v_addc_co_u32_e32 v11, vcc, v6, v1, vcc
	v_mov_b32_e32 v16, s3
	v_add_co_u32_e32 v0, vcc, s2, v0
	v_add_co_u32_e64 v8, s[0:1], s2, v8
	v_addc_co_u32_e64 v9, s[0:1], v9, v16, s[0:1]
	v_addc_co_u32_e32 v1, vcc, v1, v16, vcc
	v_cmp_ge_u64_e32 vcc, v[8:9], v[2:3]
	s_or_b64 s[4:5], vcc, s[4:5]
	s_waitcnt vmcnt(0)
	v_sub_f32_e32 v16, v18, v19
	v_cmp_lt_f32_e64 s[0:1], 0, v16
	v_cndmask_b32_e64 v17, 0, 1, s[0:1]
	v_cmp_gt_f32_e64 s[0:1], 0, v16
	v_subbrev_co_u32_e64 v17, s[0:1], 0, v17, s[0:1]
	v_cvt_f32_i32_e32 v17, v17
	v_cmp_eq_f32_e64 s[0:1], |v16|, v13
	v_cndmask_b32_e64 v16, 0, 1.0, s[0:1]
	v_mul_f32_e32 v17, v12, v17
	v_mul_f32_e32 v16, v17, v16
	global_store_dword v[10:11], v16, off
	s_andn2_b64 exec, exec, s[4:5]
	s_cbranch_execnz .LBB39_11
.LBB39_12:
	s_endpgm
	.section	.rodata,"a",@progbits
	.p2align	6, 0x0
	.amdhsa_kernel _ZN2at6native12_GLOBAL__N_131cdist_backward_kernel_cuda_implIfNS1_5distsIfE3infEEEvPT_PKS6_S9_S9_S9_S6_lllllll
		.amdhsa_group_segment_fixed_size 0
		.amdhsa_private_segment_fixed_size 0
		.amdhsa_kernarg_size 360
		.amdhsa_user_sgpr_count 6
		.amdhsa_user_sgpr_private_segment_buffer 1
		.amdhsa_user_sgpr_dispatch_ptr 0
		.amdhsa_user_sgpr_queue_ptr 0
		.amdhsa_user_sgpr_kernarg_segment_ptr 1
		.amdhsa_user_sgpr_dispatch_id 0
		.amdhsa_user_sgpr_flat_scratch_init 0
		.amdhsa_user_sgpr_kernarg_preload_length 0
		.amdhsa_user_sgpr_kernarg_preload_offset 0
		.amdhsa_user_sgpr_private_segment_size 0
		.amdhsa_uses_dynamic_stack 0
		.amdhsa_system_sgpr_private_segment_wavefront_offset 0
		.amdhsa_system_sgpr_workgroup_id_x 1
		.amdhsa_system_sgpr_workgroup_id_y 1
		.amdhsa_system_sgpr_workgroup_id_z 1
		.amdhsa_system_sgpr_workgroup_info 0
		.amdhsa_system_vgpr_workitem_id 1
		.amdhsa_next_free_vgpr 22
		.amdhsa_next_free_sgpr 44
		.amdhsa_accum_offset 24
		.amdhsa_reserve_vcc 1
		.amdhsa_reserve_flat_scratch 0
		.amdhsa_float_round_mode_32 0
		.amdhsa_float_round_mode_16_64 0
		.amdhsa_float_denorm_mode_32 3
		.amdhsa_float_denorm_mode_16_64 3
		.amdhsa_dx10_clamp 1
		.amdhsa_ieee_mode 1
		.amdhsa_fp16_overflow 0
		.amdhsa_tg_split 0
		.amdhsa_exception_fp_ieee_invalid_op 0
		.amdhsa_exception_fp_denorm_src 0
		.amdhsa_exception_fp_ieee_div_zero 0
		.amdhsa_exception_fp_ieee_overflow 0
		.amdhsa_exception_fp_ieee_underflow 0
		.amdhsa_exception_fp_ieee_inexact 0
		.amdhsa_exception_int_div_zero 0
	.end_amdhsa_kernel
	.section	.text._ZN2at6native12_GLOBAL__N_131cdist_backward_kernel_cuda_implIfNS1_5distsIfE3infEEEvPT_PKS6_S9_S9_S9_S6_lllllll,"axG",@progbits,_ZN2at6native12_GLOBAL__N_131cdist_backward_kernel_cuda_implIfNS1_5distsIfE3infEEEvPT_PKS6_S9_S9_S9_S6_lllllll,comdat
.Lfunc_end39:
	.size	_ZN2at6native12_GLOBAL__N_131cdist_backward_kernel_cuda_implIfNS1_5distsIfE3infEEEvPT_PKS6_S9_S9_S9_S6_lllllll, .Lfunc_end39-_ZN2at6native12_GLOBAL__N_131cdist_backward_kernel_cuda_implIfNS1_5distsIfE3infEEEvPT_PKS6_S9_S9_S9_S6_lllllll
                                        ; -- End function
	.section	.AMDGPU.csdata,"",@progbits
; Kernel info:
; codeLenInByte = 2440
; NumSgprs: 48
; NumVgprs: 22
; NumAgprs: 0
; TotalNumVgprs: 22
; ScratchSize: 0
; MemoryBound: 0
; FloatMode: 240
; IeeeMode: 1
; LDSByteSize: 0 bytes/workgroup (compile time only)
; SGPRBlocks: 5
; VGPRBlocks: 2
; NumSGPRsForWavesPerEU: 48
; NumVGPRsForWavesPerEU: 22
; AccumOffset: 24
; Occupancy: 8
; WaveLimiterHint : 0
; COMPUTE_PGM_RSRC2:SCRATCH_EN: 0
; COMPUTE_PGM_RSRC2:USER_SGPR: 6
; COMPUTE_PGM_RSRC2:TRAP_HANDLER: 0
; COMPUTE_PGM_RSRC2:TGID_X_EN: 1
; COMPUTE_PGM_RSRC2:TGID_Y_EN: 1
; COMPUTE_PGM_RSRC2:TGID_Z_EN: 1
; COMPUTE_PGM_RSRC2:TIDIG_COMP_CNT: 1
; COMPUTE_PGM_RSRC3_GFX90A:ACCUM_OFFSET: 5
; COMPUTE_PGM_RSRC3_GFX90A:TG_SPLIT: 0
	.text
	.p2alignl 6, 3212836864
	.fill 256, 4, 3212836864
	.type	__hip_cuid_600070f92cfa9957,@object ; @__hip_cuid_600070f92cfa9957
	.section	.bss,"aw",@nobits
	.globl	__hip_cuid_600070f92cfa9957
__hip_cuid_600070f92cfa9957:
	.byte	0                               ; 0x0
	.size	__hip_cuid_600070f92cfa9957, 1

	.ident	"AMD clang version 19.0.0git (https://github.com/RadeonOpenCompute/llvm-project roc-6.4.0 25133 c7fe45cf4b819c5991fe208aaa96edf142730f1d)"
	.section	".note.GNU-stack","",@progbits
	.addrsig
	.addrsig_sym __hip_cuid_600070f92cfa9957
	.amdgpu_metadata
---
amdhsa.kernels:
  - .agpr_count:     0
    .args:
      - .address_space:  global
        .offset:         0
        .size:           8
        .value_kind:     global_buffer
      - .address_space:  global
        .offset:         8
        .size:           8
        .value_kind:     global_buffer
      - .address_space:  global
        .offset:         16
        .size:           8
        .value_kind:     global_buffer
      - .offset:         24
        .size:           8
        .value_kind:     by_value
      - .offset:         32
        .size:           8
        .value_kind:     by_value
      - .offset:         40
        .size:           8
        .value_kind:     by_value
      - .offset:         48
        .size:           8
        .value_kind:     by_value
      - .offset:         56
        .size:           8
        .value_kind:     by_value
      - .offset:         64
        .size:           8
        .value_kind:     by_value
      - .offset:         72
        .size:           4
        .value_kind:     hidden_block_count_x
      - .offset:         76
        .size:           4
        .value_kind:     hidden_block_count_y
      - .offset:         80
        .size:           4
        .value_kind:     hidden_block_count_z
      - .offset:         84
        .size:           2
        .value_kind:     hidden_group_size_x
      - .offset:         86
        .size:           2
        .value_kind:     hidden_group_size_y
      - .offset:         88
        .size:           2
        .value_kind:     hidden_group_size_z
      - .offset:         90
        .size:           2
        .value_kind:     hidden_remainder_x
      - .offset:         92
        .size:           2
        .value_kind:     hidden_remainder_y
      - .offset:         94
        .size:           2
        .value_kind:     hidden_remainder_z
      - .offset:         112
        .size:           8
        .value_kind:     hidden_global_offset_x
      - .offset:         120
        .size:           8
        .value_kind:     hidden_global_offset_y
      - .offset:         128
        .size:           8
        .value_kind:     hidden_global_offset_z
      - .offset:         136
        .size:           2
        .value_kind:     hidden_grid_dims
    .group_segment_fixed_size: 2048
    .kernarg_segment_align: 8
    .kernarg_segment_size: 328
    .language:       OpenCL C
    .language_version:
      - 2
      - 0
    .max_flat_workgroup_size: 1024
    .name:           _ZN2at6native12_GLOBAL__N_122cdist_kernel_cuda_implIdNS1_5distsIdE1pEEEvPT_PKS6_S9_S6_lllll
    .private_segment_fixed_size: 0
    .sgpr_count:     60
    .sgpr_spill_count: 0
    .symbol:         _ZN2at6native12_GLOBAL__N_122cdist_kernel_cuda_implIdNS1_5distsIdE1pEEEvPT_PKS6_S9_S6_lllll.kd
    .uniform_work_group_size: 1
    .uses_dynamic_stack: false
    .vgpr_count:     72
    .vgpr_spill_count: 0
    .wavefront_size: 64
  - .agpr_count:     0
    .args:
      - .address_space:  global
        .offset:         0
        .size:           8
        .value_kind:     global_buffer
      - .address_space:  global
        .offset:         8
        .size:           8
        .value_kind:     global_buffer
      - .address_space:  global
        .offset:         16
        .size:           8
        .value_kind:     global_buffer
      - .offset:         24
        .size:           8
        .value_kind:     by_value
      - .offset:         32
        .size:           8
        .value_kind:     by_value
      - .offset:         40
        .size:           8
        .value_kind:     by_value
      - .offset:         48
        .size:           8
        .value_kind:     by_value
      - .offset:         56
        .size:           8
        .value_kind:     by_value
      - .offset:         64
        .size:           8
        .value_kind:     by_value
      - .offset:         72
        .size:           4
        .value_kind:     hidden_block_count_x
      - .offset:         76
        .size:           4
        .value_kind:     hidden_block_count_y
      - .offset:         80
        .size:           4
        .value_kind:     hidden_block_count_z
      - .offset:         84
        .size:           2
        .value_kind:     hidden_group_size_x
      - .offset:         86
        .size:           2
        .value_kind:     hidden_group_size_y
      - .offset:         88
        .size:           2
        .value_kind:     hidden_group_size_z
      - .offset:         90
        .size:           2
        .value_kind:     hidden_remainder_x
      - .offset:         92
        .size:           2
        .value_kind:     hidden_remainder_y
      - .offset:         94
        .size:           2
        .value_kind:     hidden_remainder_z
      - .offset:         112
        .size:           8
        .value_kind:     hidden_global_offset_x
      - .offset:         120
        .size:           8
        .value_kind:     hidden_global_offset_y
      - .offset:         128
        .size:           8
        .value_kind:     hidden_global_offset_z
      - .offset:         136
        .size:           2
        .value_kind:     hidden_grid_dims
    .group_segment_fixed_size: 2048
    .kernarg_segment_align: 8
    .kernarg_segment_size: 328
    .language:       OpenCL C
    .language_version:
      - 2
      - 0
    .max_flat_workgroup_size: 1024
    .name:           _ZN2at6native12_GLOBAL__N_122cdist_kernel_cuda_implIdNS1_5distsIdE4zeroEEEvPT_PKS6_S9_S6_lllll
    .private_segment_fixed_size: 0
    .sgpr_count:     38
    .sgpr_spill_count: 0
    .symbol:         _ZN2at6native12_GLOBAL__N_122cdist_kernel_cuda_implIdNS1_5distsIdE4zeroEEEvPT_PKS6_S9_S6_lllll.kd
    .uniform_work_group_size: 1
    .uses_dynamic_stack: false
    .vgpr_count:     18
    .vgpr_spill_count: 0
    .wavefront_size: 64
  - .agpr_count:     0
    .args:
      - .address_space:  global
        .offset:         0
        .size:           8
        .value_kind:     global_buffer
      - .address_space:  global
        .offset:         8
        .size:           8
        .value_kind:     global_buffer
      - .address_space:  global
        .offset:         16
        .size:           8
        .value_kind:     global_buffer
      - .offset:         24
        .size:           8
        .value_kind:     by_value
      - .offset:         32
        .size:           8
        .value_kind:     by_value
      - .offset:         40
        .size:           8
        .value_kind:     by_value
      - .offset:         48
        .size:           8
        .value_kind:     by_value
      - .offset:         56
        .size:           8
        .value_kind:     by_value
      - .offset:         64
        .size:           8
        .value_kind:     by_value
      - .offset:         72
        .size:           4
        .value_kind:     hidden_block_count_x
      - .offset:         76
        .size:           4
        .value_kind:     hidden_block_count_y
      - .offset:         80
        .size:           4
        .value_kind:     hidden_block_count_z
      - .offset:         84
        .size:           2
        .value_kind:     hidden_group_size_x
      - .offset:         86
        .size:           2
        .value_kind:     hidden_group_size_y
      - .offset:         88
        .size:           2
        .value_kind:     hidden_group_size_z
      - .offset:         90
        .size:           2
        .value_kind:     hidden_remainder_x
      - .offset:         92
        .size:           2
        .value_kind:     hidden_remainder_y
      - .offset:         94
        .size:           2
        .value_kind:     hidden_remainder_z
      - .offset:         112
        .size:           8
        .value_kind:     hidden_global_offset_x
      - .offset:         120
        .size:           8
        .value_kind:     hidden_global_offset_y
      - .offset:         128
        .size:           8
        .value_kind:     hidden_global_offset_z
      - .offset:         136
        .size:           2
        .value_kind:     hidden_grid_dims
    .group_segment_fixed_size: 2048
    .kernarg_segment_align: 8
    .kernarg_segment_size: 328
    .language:       OpenCL C
    .language_version:
      - 2
      - 0
    .max_flat_workgroup_size: 1024
    .name:           _ZN2at6native12_GLOBAL__N_122cdist_kernel_cuda_implIdNS1_5distsIdE3oneEEEvPT_PKS6_S9_S6_lllll
    .private_segment_fixed_size: 0
    .sgpr_count:     38
    .sgpr_spill_count: 0
    .symbol:         _ZN2at6native12_GLOBAL__N_122cdist_kernel_cuda_implIdNS1_5distsIdE3oneEEEvPT_PKS6_S9_S6_lllll.kd
    .uniform_work_group_size: 1
    .uses_dynamic_stack: false
    .vgpr_count:     18
    .vgpr_spill_count: 0
    .wavefront_size: 64
  - .agpr_count:     0
    .args:
      - .address_space:  global
        .offset:         0
        .size:           8
        .value_kind:     global_buffer
      - .address_space:  global
        .offset:         8
        .size:           8
        .value_kind:     global_buffer
      - .address_space:  global
        .offset:         16
        .size:           8
        .value_kind:     global_buffer
      - .offset:         24
        .size:           8
        .value_kind:     by_value
      - .offset:         32
        .size:           8
        .value_kind:     by_value
      - .offset:         40
        .size:           8
        .value_kind:     by_value
      - .offset:         48
        .size:           8
        .value_kind:     by_value
      - .offset:         56
        .size:           8
        .value_kind:     by_value
      - .offset:         64
        .size:           8
        .value_kind:     by_value
      - .offset:         72
        .size:           4
        .value_kind:     hidden_block_count_x
      - .offset:         76
        .size:           4
        .value_kind:     hidden_block_count_y
      - .offset:         80
        .size:           4
        .value_kind:     hidden_block_count_z
      - .offset:         84
        .size:           2
        .value_kind:     hidden_group_size_x
      - .offset:         86
        .size:           2
        .value_kind:     hidden_group_size_y
      - .offset:         88
        .size:           2
        .value_kind:     hidden_group_size_z
      - .offset:         90
        .size:           2
        .value_kind:     hidden_remainder_x
      - .offset:         92
        .size:           2
        .value_kind:     hidden_remainder_y
      - .offset:         94
        .size:           2
        .value_kind:     hidden_remainder_z
      - .offset:         112
        .size:           8
        .value_kind:     hidden_global_offset_x
      - .offset:         120
        .size:           8
        .value_kind:     hidden_global_offset_y
      - .offset:         128
        .size:           8
        .value_kind:     hidden_global_offset_z
      - .offset:         136
        .size:           2
        .value_kind:     hidden_grid_dims
    .group_segment_fixed_size: 2048
    .kernarg_segment_align: 8
    .kernarg_segment_size: 328
    .language:       OpenCL C
    .language_version:
      - 2
      - 0
    .max_flat_workgroup_size: 1024
    .name:           _ZN2at6native12_GLOBAL__N_122cdist_kernel_cuda_implIdNS1_5distsIdE3twoEEEvPT_PKS6_S9_S6_lllll
    .private_segment_fixed_size: 0
    .sgpr_count:     38
    .sgpr_spill_count: 0
    .symbol:         _ZN2at6native12_GLOBAL__N_122cdist_kernel_cuda_implIdNS1_5distsIdE3twoEEEvPT_PKS6_S9_S6_lllll.kd
    .uniform_work_group_size: 1
    .uses_dynamic_stack: false
    .vgpr_count:     18
    .vgpr_spill_count: 0
    .wavefront_size: 64
  - .agpr_count:     0
    .args:
      - .address_space:  global
        .offset:         0
        .size:           8
        .value_kind:     global_buffer
      - .address_space:  global
        .offset:         8
        .size:           8
        .value_kind:     global_buffer
      - .address_space:  global
        .offset:         16
        .size:           8
        .value_kind:     global_buffer
      - .offset:         24
        .size:           8
        .value_kind:     by_value
      - .offset:         32
        .size:           8
        .value_kind:     by_value
      - .offset:         40
        .size:           8
        .value_kind:     by_value
      - .offset:         48
        .size:           8
        .value_kind:     by_value
      - .offset:         56
        .size:           8
        .value_kind:     by_value
      - .offset:         64
        .size:           8
        .value_kind:     by_value
      - .offset:         72
        .size:           4
        .value_kind:     hidden_block_count_x
      - .offset:         76
        .size:           4
        .value_kind:     hidden_block_count_y
      - .offset:         80
        .size:           4
        .value_kind:     hidden_block_count_z
      - .offset:         84
        .size:           2
        .value_kind:     hidden_group_size_x
      - .offset:         86
        .size:           2
        .value_kind:     hidden_group_size_y
      - .offset:         88
        .size:           2
        .value_kind:     hidden_group_size_z
      - .offset:         90
        .size:           2
        .value_kind:     hidden_remainder_x
      - .offset:         92
        .size:           2
        .value_kind:     hidden_remainder_y
      - .offset:         94
        .size:           2
        .value_kind:     hidden_remainder_z
      - .offset:         112
        .size:           8
        .value_kind:     hidden_global_offset_x
      - .offset:         120
        .size:           8
        .value_kind:     hidden_global_offset_y
      - .offset:         128
        .size:           8
        .value_kind:     hidden_global_offset_z
      - .offset:         136
        .size:           2
        .value_kind:     hidden_grid_dims
    .group_segment_fixed_size: 2048
    .kernarg_segment_align: 8
    .kernarg_segment_size: 328
    .language:       OpenCL C
    .language_version:
      - 2
      - 0
    .max_flat_workgroup_size: 1024
    .name:           _ZN2at6native12_GLOBAL__N_122cdist_kernel_cuda_implIdNS1_5distsIdE3infEEEvPT_PKS6_S9_S6_lllll
    .private_segment_fixed_size: 0
    .sgpr_count:     38
    .sgpr_spill_count: 0
    .symbol:         _ZN2at6native12_GLOBAL__N_122cdist_kernel_cuda_implIdNS1_5distsIdE3infEEEvPT_PKS6_S9_S6_lllll.kd
    .uniform_work_group_size: 1
    .uses_dynamic_stack: false
    .vgpr_count:     18
    .vgpr_spill_count: 0
    .wavefront_size: 64
  - .agpr_count:     0
    .args:
      - .address_space:  global
        .offset:         0
        .size:           8
        .value_kind:     global_buffer
      - .address_space:  global
        .offset:         8
        .size:           8
        .value_kind:     global_buffer
      - .address_space:  global
        .offset:         16
        .size:           8
        .value_kind:     global_buffer
      - .offset:         24
        .size:           4
        .value_kind:     by_value
      - .offset:         32
        .size:           8
        .value_kind:     by_value
      - .offset:         40
        .size:           8
        .value_kind:     by_value
      - .offset:         48
        .size:           8
        .value_kind:     by_value
      - .offset:         56
        .size:           8
        .value_kind:     by_value
      - .offset:         64
        .size:           8
        .value_kind:     by_value
      - .offset:         72
        .size:           4
        .value_kind:     hidden_block_count_x
      - .offset:         76
        .size:           4
        .value_kind:     hidden_block_count_y
      - .offset:         80
        .size:           4
        .value_kind:     hidden_block_count_z
      - .offset:         84
        .size:           2
        .value_kind:     hidden_group_size_x
      - .offset:         86
        .size:           2
        .value_kind:     hidden_group_size_y
      - .offset:         88
        .size:           2
        .value_kind:     hidden_group_size_z
      - .offset:         90
        .size:           2
        .value_kind:     hidden_remainder_x
      - .offset:         92
        .size:           2
        .value_kind:     hidden_remainder_y
      - .offset:         94
        .size:           2
        .value_kind:     hidden_remainder_z
      - .offset:         112
        .size:           8
        .value_kind:     hidden_global_offset_x
      - .offset:         120
        .size:           8
        .value_kind:     hidden_global_offset_y
      - .offset:         128
        .size:           8
        .value_kind:     hidden_global_offset_z
      - .offset:         136
        .size:           2
        .value_kind:     hidden_grid_dims
    .group_segment_fixed_size: 1024
    .kernarg_segment_align: 8
    .kernarg_segment_size: 328
    .language:       OpenCL C
    .language_version:
      - 2
      - 0
    .max_flat_workgroup_size: 1024
    .name:           _ZN2at6native12_GLOBAL__N_122cdist_kernel_cuda_implIfNS1_5distsIfE1pEEEvPT_PKS6_S9_S6_lllll
    .private_segment_fixed_size: 0
    .sgpr_count:     40
    .sgpr_spill_count: 0
    .symbol:         _ZN2at6native12_GLOBAL__N_122cdist_kernel_cuda_implIfNS1_5distsIfE1pEEEvPT_PKS6_S9_S6_lllll.kd
    .uniform_work_group_size: 1
    .uses_dynamic_stack: false
    .vgpr_count:     35
    .vgpr_spill_count: 0
    .wavefront_size: 64
  - .agpr_count:     0
    .args:
      - .address_space:  global
        .offset:         0
        .size:           8
        .value_kind:     global_buffer
      - .address_space:  global
        .offset:         8
        .size:           8
        .value_kind:     global_buffer
      - .address_space:  global
        .offset:         16
        .size:           8
        .value_kind:     global_buffer
      - .offset:         24
        .size:           4
        .value_kind:     by_value
      - .offset:         32
        .size:           8
        .value_kind:     by_value
      - .offset:         40
        .size:           8
        .value_kind:     by_value
      - .offset:         48
        .size:           8
        .value_kind:     by_value
      - .offset:         56
        .size:           8
        .value_kind:     by_value
      - .offset:         64
        .size:           8
        .value_kind:     by_value
      - .offset:         72
        .size:           4
        .value_kind:     hidden_block_count_x
      - .offset:         76
        .size:           4
        .value_kind:     hidden_block_count_y
      - .offset:         80
        .size:           4
        .value_kind:     hidden_block_count_z
      - .offset:         84
        .size:           2
        .value_kind:     hidden_group_size_x
      - .offset:         86
        .size:           2
        .value_kind:     hidden_group_size_y
      - .offset:         88
        .size:           2
        .value_kind:     hidden_group_size_z
      - .offset:         90
        .size:           2
        .value_kind:     hidden_remainder_x
      - .offset:         92
        .size:           2
        .value_kind:     hidden_remainder_y
      - .offset:         94
        .size:           2
        .value_kind:     hidden_remainder_z
      - .offset:         112
        .size:           8
        .value_kind:     hidden_global_offset_x
      - .offset:         120
        .size:           8
        .value_kind:     hidden_global_offset_y
      - .offset:         128
        .size:           8
        .value_kind:     hidden_global_offset_z
      - .offset:         136
        .size:           2
        .value_kind:     hidden_grid_dims
    .group_segment_fixed_size: 1024
    .kernarg_segment_align: 8
    .kernarg_segment_size: 328
    .language:       OpenCL C
    .language_version:
      - 2
      - 0
    .max_flat_workgroup_size: 1024
    .name:           _ZN2at6native12_GLOBAL__N_122cdist_kernel_cuda_implIfNS1_5distsIfE4zeroEEEvPT_PKS6_S9_S6_lllll
    .private_segment_fixed_size: 0
    .sgpr_count:     38
    .sgpr_spill_count: 0
    .symbol:         _ZN2at6native12_GLOBAL__N_122cdist_kernel_cuda_implIfNS1_5distsIfE4zeroEEEvPT_PKS6_S9_S6_lllll.kd
    .uniform_work_group_size: 1
    .uses_dynamic_stack: false
    .vgpr_count:     15
    .vgpr_spill_count: 0
    .wavefront_size: 64
  - .agpr_count:     0
    .args:
      - .address_space:  global
        .offset:         0
        .size:           8
        .value_kind:     global_buffer
      - .address_space:  global
        .offset:         8
        .size:           8
        .value_kind:     global_buffer
      - .address_space:  global
        .offset:         16
        .size:           8
        .value_kind:     global_buffer
      - .offset:         24
        .size:           4
        .value_kind:     by_value
      - .offset:         32
        .size:           8
        .value_kind:     by_value
      - .offset:         40
        .size:           8
        .value_kind:     by_value
      - .offset:         48
        .size:           8
        .value_kind:     by_value
      - .offset:         56
        .size:           8
        .value_kind:     by_value
      - .offset:         64
        .size:           8
        .value_kind:     by_value
      - .offset:         72
        .size:           4
        .value_kind:     hidden_block_count_x
      - .offset:         76
        .size:           4
        .value_kind:     hidden_block_count_y
      - .offset:         80
        .size:           4
        .value_kind:     hidden_block_count_z
      - .offset:         84
        .size:           2
        .value_kind:     hidden_group_size_x
      - .offset:         86
        .size:           2
        .value_kind:     hidden_group_size_y
      - .offset:         88
        .size:           2
        .value_kind:     hidden_group_size_z
      - .offset:         90
        .size:           2
        .value_kind:     hidden_remainder_x
      - .offset:         92
        .size:           2
        .value_kind:     hidden_remainder_y
      - .offset:         94
        .size:           2
        .value_kind:     hidden_remainder_z
      - .offset:         112
        .size:           8
        .value_kind:     hidden_global_offset_x
      - .offset:         120
        .size:           8
        .value_kind:     hidden_global_offset_y
      - .offset:         128
        .size:           8
        .value_kind:     hidden_global_offset_z
      - .offset:         136
        .size:           2
        .value_kind:     hidden_grid_dims
    .group_segment_fixed_size: 1024
    .kernarg_segment_align: 8
    .kernarg_segment_size: 328
    .language:       OpenCL C
    .language_version:
      - 2
      - 0
    .max_flat_workgroup_size: 1024
    .name:           _ZN2at6native12_GLOBAL__N_122cdist_kernel_cuda_implIfNS1_5distsIfE3oneEEEvPT_PKS6_S9_S6_lllll
    .private_segment_fixed_size: 0
    .sgpr_count:     38
    .sgpr_spill_count: 0
    .symbol:         _ZN2at6native12_GLOBAL__N_122cdist_kernel_cuda_implIfNS1_5distsIfE3oneEEEvPT_PKS6_S9_S6_lllll.kd
    .uniform_work_group_size: 1
    .uses_dynamic_stack: false
    .vgpr_count:     15
    .vgpr_spill_count: 0
    .wavefront_size: 64
  - .agpr_count:     0
    .args:
      - .address_space:  global
        .offset:         0
        .size:           8
        .value_kind:     global_buffer
      - .address_space:  global
        .offset:         8
        .size:           8
        .value_kind:     global_buffer
      - .address_space:  global
        .offset:         16
        .size:           8
        .value_kind:     global_buffer
      - .offset:         24
        .size:           4
        .value_kind:     by_value
      - .offset:         32
        .size:           8
        .value_kind:     by_value
      - .offset:         40
        .size:           8
        .value_kind:     by_value
      - .offset:         48
        .size:           8
        .value_kind:     by_value
      - .offset:         56
        .size:           8
        .value_kind:     by_value
      - .offset:         64
        .size:           8
        .value_kind:     by_value
      - .offset:         72
        .size:           4
        .value_kind:     hidden_block_count_x
      - .offset:         76
        .size:           4
        .value_kind:     hidden_block_count_y
      - .offset:         80
        .size:           4
        .value_kind:     hidden_block_count_z
      - .offset:         84
        .size:           2
        .value_kind:     hidden_group_size_x
      - .offset:         86
        .size:           2
        .value_kind:     hidden_group_size_y
      - .offset:         88
        .size:           2
        .value_kind:     hidden_group_size_z
      - .offset:         90
        .size:           2
        .value_kind:     hidden_remainder_x
      - .offset:         92
        .size:           2
        .value_kind:     hidden_remainder_y
      - .offset:         94
        .size:           2
        .value_kind:     hidden_remainder_z
      - .offset:         112
        .size:           8
        .value_kind:     hidden_global_offset_x
      - .offset:         120
        .size:           8
        .value_kind:     hidden_global_offset_y
      - .offset:         128
        .size:           8
        .value_kind:     hidden_global_offset_z
      - .offset:         136
        .size:           2
        .value_kind:     hidden_grid_dims
    .group_segment_fixed_size: 1024
    .kernarg_segment_align: 8
    .kernarg_segment_size: 328
    .language:       OpenCL C
    .language_version:
      - 2
      - 0
    .max_flat_workgroup_size: 1024
    .name:           _ZN2at6native12_GLOBAL__N_122cdist_kernel_cuda_implIfNS1_5distsIfE3twoEEEvPT_PKS6_S9_S6_lllll
    .private_segment_fixed_size: 0
    .sgpr_count:     38
    .sgpr_spill_count: 0
    .symbol:         _ZN2at6native12_GLOBAL__N_122cdist_kernel_cuda_implIfNS1_5distsIfE3twoEEEvPT_PKS6_S9_S6_lllll.kd
    .uniform_work_group_size: 1
    .uses_dynamic_stack: false
    .vgpr_count:     15
    .vgpr_spill_count: 0
    .wavefront_size: 64
  - .agpr_count:     0
    .args:
      - .address_space:  global
        .offset:         0
        .size:           8
        .value_kind:     global_buffer
      - .address_space:  global
        .offset:         8
        .size:           8
        .value_kind:     global_buffer
      - .address_space:  global
        .offset:         16
        .size:           8
        .value_kind:     global_buffer
      - .offset:         24
        .size:           4
        .value_kind:     by_value
      - .offset:         32
        .size:           8
        .value_kind:     by_value
      - .offset:         40
        .size:           8
        .value_kind:     by_value
      - .offset:         48
        .size:           8
        .value_kind:     by_value
      - .offset:         56
        .size:           8
        .value_kind:     by_value
      - .offset:         64
        .size:           8
        .value_kind:     by_value
      - .offset:         72
        .size:           4
        .value_kind:     hidden_block_count_x
      - .offset:         76
        .size:           4
        .value_kind:     hidden_block_count_y
      - .offset:         80
        .size:           4
        .value_kind:     hidden_block_count_z
      - .offset:         84
        .size:           2
        .value_kind:     hidden_group_size_x
      - .offset:         86
        .size:           2
        .value_kind:     hidden_group_size_y
      - .offset:         88
        .size:           2
        .value_kind:     hidden_group_size_z
      - .offset:         90
        .size:           2
        .value_kind:     hidden_remainder_x
      - .offset:         92
        .size:           2
        .value_kind:     hidden_remainder_y
      - .offset:         94
        .size:           2
        .value_kind:     hidden_remainder_z
      - .offset:         112
        .size:           8
        .value_kind:     hidden_global_offset_x
      - .offset:         120
        .size:           8
        .value_kind:     hidden_global_offset_y
      - .offset:         128
        .size:           8
        .value_kind:     hidden_global_offset_z
      - .offset:         136
        .size:           2
        .value_kind:     hidden_grid_dims
    .group_segment_fixed_size: 1024
    .kernarg_segment_align: 8
    .kernarg_segment_size: 328
    .language:       OpenCL C
    .language_version:
      - 2
      - 0
    .max_flat_workgroup_size: 1024
    .name:           _ZN2at6native12_GLOBAL__N_122cdist_kernel_cuda_implIfNS1_5distsIfE3infEEEvPT_PKS6_S9_S6_lllll
    .private_segment_fixed_size: 0
    .sgpr_count:     38
    .sgpr_spill_count: 0
    .symbol:         _ZN2at6native12_GLOBAL__N_122cdist_kernel_cuda_implIfNS1_5distsIfE3infEEEvPT_PKS6_S9_S6_lllll.kd
    .uniform_work_group_size: 1
    .uses_dynamic_stack: false
    .vgpr_count:     15
    .vgpr_spill_count: 0
    .wavefront_size: 64
  - .agpr_count:     0
    .args:
      - .address_space:  global
        .offset:         0
        .size:           8
        .value_kind:     global_buffer
      - .address_space:  global
        .offset:         8
        .size:           8
        .value_kind:     global_buffer
      - .offset:         16
        .size:           8
        .value_kind:     by_value
      - .offset:         24
        .size:           8
        .value_kind:     by_value
      - .offset:         32
        .size:           8
        .value_kind:     by_value
      - .offset:         40
        .size:           8
        .value_kind:     by_value
      - .offset:         48
        .size:           8
        .value_kind:     by_value
      - .offset:         56
        .size:           4
        .value_kind:     hidden_block_count_x
      - .offset:         60
        .size:           4
        .value_kind:     hidden_block_count_y
      - .offset:         64
        .size:           4
        .value_kind:     hidden_block_count_z
      - .offset:         68
        .size:           2
        .value_kind:     hidden_group_size_x
      - .offset:         70
        .size:           2
        .value_kind:     hidden_group_size_y
      - .offset:         72
        .size:           2
        .value_kind:     hidden_group_size_z
      - .offset:         74
        .size:           2
        .value_kind:     hidden_remainder_x
      - .offset:         76
        .size:           2
        .value_kind:     hidden_remainder_y
      - .offset:         78
        .size:           2
        .value_kind:     hidden_remainder_z
      - .offset:         96
        .size:           8
        .value_kind:     hidden_global_offset_x
      - .offset:         104
        .size:           8
        .value_kind:     hidden_global_offset_y
      - .offset:         112
        .size:           8
        .value_kind:     hidden_global_offset_z
      - .offset:         120
        .size:           2
        .value_kind:     hidden_grid_dims
    .group_segment_fixed_size: 2048
    .kernarg_segment_align: 8
    .kernarg_segment_size: 312
    .language:       OpenCL C
    .language_version:
      - 2
      - 0
    .max_flat_workgroup_size: 1024
    .name:           _ZN2at6native12_GLOBAL__N_122pdist_kernel_cuda_implIdNS1_5distsIdE1pEEEvPT_PKS6_llS6_dd
    .private_segment_fixed_size: 0
    .sgpr_count:     57
    .sgpr_spill_count: 0
    .symbol:         _ZN2at6native12_GLOBAL__N_122pdist_kernel_cuda_implIdNS1_5distsIdE1pEEEvPT_PKS6_llS6_dd.kd
    .uniform_work_group_size: 1
    .uses_dynamic_stack: false
    .vgpr_count:     76
    .vgpr_spill_count: 0
    .wavefront_size: 64
  - .agpr_count:     0
    .args:
      - .address_space:  global
        .offset:         0
        .size:           8
        .value_kind:     global_buffer
      - .address_space:  global
        .offset:         8
        .size:           8
        .value_kind:     global_buffer
      - .offset:         16
        .size:           8
        .value_kind:     by_value
      - .offset:         24
        .size:           8
        .value_kind:     by_value
      - .offset:         32
        .size:           8
        .value_kind:     by_value
      - .offset:         40
        .size:           8
        .value_kind:     by_value
      - .offset:         48
        .size:           8
        .value_kind:     by_value
      - .offset:         56
        .size:           4
        .value_kind:     hidden_block_count_x
      - .offset:         60
        .size:           4
        .value_kind:     hidden_block_count_y
      - .offset:         64
        .size:           4
        .value_kind:     hidden_block_count_z
      - .offset:         68
        .size:           2
        .value_kind:     hidden_group_size_x
      - .offset:         70
        .size:           2
        .value_kind:     hidden_group_size_y
      - .offset:         72
        .size:           2
        .value_kind:     hidden_group_size_z
      - .offset:         74
        .size:           2
        .value_kind:     hidden_remainder_x
      - .offset:         76
        .size:           2
        .value_kind:     hidden_remainder_y
      - .offset:         78
        .size:           2
        .value_kind:     hidden_remainder_z
      - .offset:         96
        .size:           8
        .value_kind:     hidden_global_offset_x
      - .offset:         104
        .size:           8
        .value_kind:     hidden_global_offset_y
      - .offset:         112
        .size:           8
        .value_kind:     hidden_global_offset_z
      - .offset:         120
        .size:           2
        .value_kind:     hidden_grid_dims
    .group_segment_fixed_size: 2048
    .kernarg_segment_align: 8
    .kernarg_segment_size: 312
    .language:       OpenCL C
    .language_version:
      - 2
      - 0
    .max_flat_workgroup_size: 1024
    .name:           _ZN2at6native12_GLOBAL__N_122pdist_kernel_cuda_implIdNS1_5distsIdE4zeroEEEvPT_PKS6_llS6_dd
    .private_segment_fixed_size: 0
    .sgpr_count:     28
    .sgpr_spill_count: 0
    .symbol:         _ZN2at6native12_GLOBAL__N_122pdist_kernel_cuda_implIdNS1_5distsIdE4zeroEEEvPT_PKS6_llS6_dd.kd
    .uniform_work_group_size: 1
    .uses_dynamic_stack: false
    .vgpr_count:     20
    .vgpr_spill_count: 0
    .wavefront_size: 64
  - .agpr_count:     0
    .args:
      - .address_space:  global
        .offset:         0
        .size:           8
        .value_kind:     global_buffer
      - .address_space:  global
        .offset:         8
        .size:           8
        .value_kind:     global_buffer
      - .offset:         16
        .size:           8
        .value_kind:     by_value
      - .offset:         24
        .size:           8
        .value_kind:     by_value
      - .offset:         32
        .size:           8
        .value_kind:     by_value
      - .offset:         40
        .size:           8
        .value_kind:     by_value
      - .offset:         48
        .size:           8
        .value_kind:     by_value
      - .offset:         56
        .size:           4
        .value_kind:     hidden_block_count_x
      - .offset:         60
        .size:           4
        .value_kind:     hidden_block_count_y
      - .offset:         64
        .size:           4
        .value_kind:     hidden_block_count_z
      - .offset:         68
        .size:           2
        .value_kind:     hidden_group_size_x
      - .offset:         70
        .size:           2
        .value_kind:     hidden_group_size_y
      - .offset:         72
        .size:           2
        .value_kind:     hidden_group_size_z
      - .offset:         74
        .size:           2
        .value_kind:     hidden_remainder_x
      - .offset:         76
        .size:           2
        .value_kind:     hidden_remainder_y
      - .offset:         78
        .size:           2
        .value_kind:     hidden_remainder_z
      - .offset:         96
        .size:           8
        .value_kind:     hidden_global_offset_x
      - .offset:         104
        .size:           8
        .value_kind:     hidden_global_offset_y
      - .offset:         112
        .size:           8
        .value_kind:     hidden_global_offset_z
      - .offset:         120
        .size:           2
        .value_kind:     hidden_grid_dims
    .group_segment_fixed_size: 2048
    .kernarg_segment_align: 8
    .kernarg_segment_size: 312
    .language:       OpenCL C
    .language_version:
      - 2
      - 0
    .max_flat_workgroup_size: 1024
    .name:           _ZN2at6native12_GLOBAL__N_122pdist_kernel_cuda_implIdNS1_5distsIdE3oneEEEvPT_PKS6_llS6_dd
    .private_segment_fixed_size: 0
    .sgpr_count:     28
    .sgpr_spill_count: 0
    .symbol:         _ZN2at6native12_GLOBAL__N_122pdist_kernel_cuda_implIdNS1_5distsIdE3oneEEEvPT_PKS6_llS6_dd.kd
    .uniform_work_group_size: 1
    .uses_dynamic_stack: false
    .vgpr_count:     22
    .vgpr_spill_count: 0
    .wavefront_size: 64
  - .agpr_count:     0
    .args:
      - .address_space:  global
        .offset:         0
        .size:           8
        .value_kind:     global_buffer
      - .address_space:  global
        .offset:         8
        .size:           8
        .value_kind:     global_buffer
      - .offset:         16
        .size:           8
        .value_kind:     by_value
      - .offset:         24
        .size:           8
        .value_kind:     by_value
      - .offset:         32
        .size:           8
        .value_kind:     by_value
      - .offset:         40
        .size:           8
        .value_kind:     by_value
      - .offset:         48
        .size:           8
        .value_kind:     by_value
      - .offset:         56
        .size:           4
        .value_kind:     hidden_block_count_x
      - .offset:         60
        .size:           4
        .value_kind:     hidden_block_count_y
      - .offset:         64
        .size:           4
        .value_kind:     hidden_block_count_z
      - .offset:         68
        .size:           2
        .value_kind:     hidden_group_size_x
      - .offset:         70
        .size:           2
        .value_kind:     hidden_group_size_y
      - .offset:         72
        .size:           2
        .value_kind:     hidden_group_size_z
      - .offset:         74
        .size:           2
        .value_kind:     hidden_remainder_x
      - .offset:         76
        .size:           2
        .value_kind:     hidden_remainder_y
      - .offset:         78
        .size:           2
        .value_kind:     hidden_remainder_z
      - .offset:         96
        .size:           8
        .value_kind:     hidden_global_offset_x
      - .offset:         104
        .size:           8
        .value_kind:     hidden_global_offset_y
      - .offset:         112
        .size:           8
        .value_kind:     hidden_global_offset_z
      - .offset:         120
        .size:           2
        .value_kind:     hidden_grid_dims
    .group_segment_fixed_size: 2048
    .kernarg_segment_align: 8
    .kernarg_segment_size: 312
    .language:       OpenCL C
    .language_version:
      - 2
      - 0
    .max_flat_workgroup_size: 1024
    .name:           _ZN2at6native12_GLOBAL__N_122pdist_kernel_cuda_implIdNS1_5distsIdE3twoEEEvPT_PKS6_llS6_dd
    .private_segment_fixed_size: 0
    .sgpr_count:     28
    .sgpr_spill_count: 0
    .symbol:         _ZN2at6native12_GLOBAL__N_122pdist_kernel_cuda_implIdNS1_5distsIdE3twoEEEvPT_PKS6_llS6_dd.kd
    .uniform_work_group_size: 1
    .uses_dynamic_stack: false
    .vgpr_count:     22
    .vgpr_spill_count: 0
    .wavefront_size: 64
  - .agpr_count:     0
    .args:
      - .address_space:  global
        .offset:         0
        .size:           8
        .value_kind:     global_buffer
      - .address_space:  global
        .offset:         8
        .size:           8
        .value_kind:     global_buffer
      - .offset:         16
        .size:           8
        .value_kind:     by_value
      - .offset:         24
        .size:           8
        .value_kind:     by_value
      - .offset:         32
        .size:           8
        .value_kind:     by_value
      - .offset:         40
        .size:           8
        .value_kind:     by_value
      - .offset:         48
        .size:           8
        .value_kind:     by_value
      - .offset:         56
        .size:           4
        .value_kind:     hidden_block_count_x
      - .offset:         60
        .size:           4
        .value_kind:     hidden_block_count_y
      - .offset:         64
        .size:           4
        .value_kind:     hidden_block_count_z
      - .offset:         68
        .size:           2
        .value_kind:     hidden_group_size_x
      - .offset:         70
        .size:           2
        .value_kind:     hidden_group_size_y
      - .offset:         72
        .size:           2
        .value_kind:     hidden_group_size_z
      - .offset:         74
        .size:           2
        .value_kind:     hidden_remainder_x
      - .offset:         76
        .size:           2
        .value_kind:     hidden_remainder_y
      - .offset:         78
        .size:           2
        .value_kind:     hidden_remainder_z
      - .offset:         96
        .size:           8
        .value_kind:     hidden_global_offset_x
      - .offset:         104
        .size:           8
        .value_kind:     hidden_global_offset_y
      - .offset:         112
        .size:           8
        .value_kind:     hidden_global_offset_z
      - .offset:         120
        .size:           2
        .value_kind:     hidden_grid_dims
    .group_segment_fixed_size: 2048
    .kernarg_segment_align: 8
    .kernarg_segment_size: 312
    .language:       OpenCL C
    .language_version:
      - 2
      - 0
    .max_flat_workgroup_size: 1024
    .name:           _ZN2at6native12_GLOBAL__N_122pdist_kernel_cuda_implIdNS1_5distsIdE3infEEEvPT_PKS6_llS6_dd
    .private_segment_fixed_size: 0
    .sgpr_count:     28
    .sgpr_spill_count: 0
    .symbol:         _ZN2at6native12_GLOBAL__N_122pdist_kernel_cuda_implIdNS1_5distsIdE3infEEEvPT_PKS6_llS6_dd.kd
    .uniform_work_group_size: 1
    .uses_dynamic_stack: false
    .vgpr_count:     22
    .vgpr_spill_count: 0
    .wavefront_size: 64
  - .agpr_count:     0
    .args:
      - .address_space:  global
        .offset:         0
        .size:           8
        .value_kind:     global_buffer
      - .address_space:  global
        .offset:         8
        .size:           8
        .value_kind:     global_buffer
      - .offset:         16
        .size:           8
        .value_kind:     by_value
      - .offset:         24
        .size:           8
        .value_kind:     by_value
      - .offset:         32
        .size:           4
        .value_kind:     by_value
      - .offset:         40
        .size:           8
        .value_kind:     by_value
      - .offset:         48
        .size:           8
        .value_kind:     by_value
      - .offset:         56
        .size:           4
        .value_kind:     hidden_block_count_x
      - .offset:         60
        .size:           4
        .value_kind:     hidden_block_count_y
      - .offset:         64
        .size:           4
        .value_kind:     hidden_block_count_z
      - .offset:         68
        .size:           2
        .value_kind:     hidden_group_size_x
      - .offset:         70
        .size:           2
        .value_kind:     hidden_group_size_y
      - .offset:         72
        .size:           2
        .value_kind:     hidden_group_size_z
      - .offset:         74
        .size:           2
        .value_kind:     hidden_remainder_x
      - .offset:         76
        .size:           2
        .value_kind:     hidden_remainder_y
      - .offset:         78
        .size:           2
        .value_kind:     hidden_remainder_z
      - .offset:         96
        .size:           8
        .value_kind:     hidden_global_offset_x
      - .offset:         104
        .size:           8
        .value_kind:     hidden_global_offset_y
      - .offset:         112
        .size:           8
        .value_kind:     hidden_global_offset_z
      - .offset:         120
        .size:           2
        .value_kind:     hidden_grid_dims
    .group_segment_fixed_size: 1024
    .kernarg_segment_align: 8
    .kernarg_segment_size: 312
    .language:       OpenCL C
    .language_version:
      - 2
      - 0
    .max_flat_workgroup_size: 1024
    .name:           _ZN2at6native12_GLOBAL__N_122pdist_kernel_cuda_implIfNS1_5distsIfE1pEEEvPT_PKS6_llS6_dd
    .private_segment_fixed_size: 0
    .sgpr_count:     36
    .sgpr_spill_count: 0
    .symbol:         _ZN2at6native12_GLOBAL__N_122pdist_kernel_cuda_implIfNS1_5distsIfE1pEEEvPT_PKS6_llS6_dd.kd
    .uniform_work_group_size: 1
    .uses_dynamic_stack: false
    .vgpr_count:     39
    .vgpr_spill_count: 0
    .wavefront_size: 64
  - .agpr_count:     0
    .args:
      - .address_space:  global
        .offset:         0
        .size:           8
        .value_kind:     global_buffer
      - .address_space:  global
        .offset:         8
        .size:           8
        .value_kind:     global_buffer
      - .offset:         16
        .size:           8
        .value_kind:     by_value
      - .offset:         24
        .size:           8
        .value_kind:     by_value
      - .offset:         32
        .size:           4
        .value_kind:     by_value
      - .offset:         40
        .size:           8
        .value_kind:     by_value
      - .offset:         48
        .size:           8
        .value_kind:     by_value
      - .offset:         56
        .size:           4
        .value_kind:     hidden_block_count_x
      - .offset:         60
        .size:           4
        .value_kind:     hidden_block_count_y
      - .offset:         64
        .size:           4
        .value_kind:     hidden_block_count_z
      - .offset:         68
        .size:           2
        .value_kind:     hidden_group_size_x
      - .offset:         70
        .size:           2
        .value_kind:     hidden_group_size_y
      - .offset:         72
        .size:           2
        .value_kind:     hidden_group_size_z
      - .offset:         74
        .size:           2
        .value_kind:     hidden_remainder_x
      - .offset:         76
        .size:           2
        .value_kind:     hidden_remainder_y
      - .offset:         78
        .size:           2
        .value_kind:     hidden_remainder_z
      - .offset:         96
        .size:           8
        .value_kind:     hidden_global_offset_x
      - .offset:         104
        .size:           8
        .value_kind:     hidden_global_offset_y
      - .offset:         112
        .size:           8
        .value_kind:     hidden_global_offset_z
      - .offset:         120
        .size:           2
        .value_kind:     hidden_grid_dims
    .group_segment_fixed_size: 1024
    .kernarg_segment_align: 8
    .kernarg_segment_size: 312
    .language:       OpenCL C
    .language_version:
      - 2
      - 0
    .max_flat_workgroup_size: 1024
    .name:           _ZN2at6native12_GLOBAL__N_122pdist_kernel_cuda_implIfNS1_5distsIfE4zeroEEEvPT_PKS6_llS6_dd
    .private_segment_fixed_size: 0
    .sgpr_count:     28
    .sgpr_spill_count: 0
    .symbol:         _ZN2at6native12_GLOBAL__N_122pdist_kernel_cuda_implIfNS1_5distsIfE4zeroEEEvPT_PKS6_llS6_dd.kd
    .uniform_work_group_size: 1
    .uses_dynamic_stack: false
    .vgpr_count:     18
    .vgpr_spill_count: 0
    .wavefront_size: 64
  - .agpr_count:     0
    .args:
      - .address_space:  global
        .offset:         0
        .size:           8
        .value_kind:     global_buffer
      - .address_space:  global
        .offset:         8
        .size:           8
        .value_kind:     global_buffer
      - .offset:         16
        .size:           8
        .value_kind:     by_value
      - .offset:         24
        .size:           8
        .value_kind:     by_value
      - .offset:         32
        .size:           4
        .value_kind:     by_value
      - .offset:         40
        .size:           8
        .value_kind:     by_value
      - .offset:         48
        .size:           8
        .value_kind:     by_value
      - .offset:         56
        .size:           4
        .value_kind:     hidden_block_count_x
      - .offset:         60
        .size:           4
        .value_kind:     hidden_block_count_y
      - .offset:         64
        .size:           4
        .value_kind:     hidden_block_count_z
      - .offset:         68
        .size:           2
        .value_kind:     hidden_group_size_x
      - .offset:         70
        .size:           2
        .value_kind:     hidden_group_size_y
      - .offset:         72
        .size:           2
        .value_kind:     hidden_group_size_z
      - .offset:         74
        .size:           2
        .value_kind:     hidden_remainder_x
      - .offset:         76
        .size:           2
        .value_kind:     hidden_remainder_y
      - .offset:         78
        .size:           2
        .value_kind:     hidden_remainder_z
      - .offset:         96
        .size:           8
        .value_kind:     hidden_global_offset_x
      - .offset:         104
        .size:           8
        .value_kind:     hidden_global_offset_y
      - .offset:         112
        .size:           8
        .value_kind:     hidden_global_offset_z
      - .offset:         120
        .size:           2
        .value_kind:     hidden_grid_dims
    .group_segment_fixed_size: 1024
    .kernarg_segment_align: 8
    .kernarg_segment_size: 312
    .language:       OpenCL C
    .language_version:
      - 2
      - 0
    .max_flat_workgroup_size: 1024
    .name:           _ZN2at6native12_GLOBAL__N_122pdist_kernel_cuda_implIfNS1_5distsIfE3oneEEEvPT_PKS6_llS6_dd
    .private_segment_fixed_size: 0
    .sgpr_count:     28
    .sgpr_spill_count: 0
    .symbol:         _ZN2at6native12_GLOBAL__N_122pdist_kernel_cuda_implIfNS1_5distsIfE3oneEEEvPT_PKS6_llS6_dd.kd
    .uniform_work_group_size: 1
    .uses_dynamic_stack: false
    .vgpr_count:     18
    .vgpr_spill_count: 0
    .wavefront_size: 64
  - .agpr_count:     0
    .args:
      - .address_space:  global
        .offset:         0
        .size:           8
        .value_kind:     global_buffer
      - .address_space:  global
        .offset:         8
        .size:           8
        .value_kind:     global_buffer
      - .offset:         16
        .size:           8
        .value_kind:     by_value
      - .offset:         24
        .size:           8
        .value_kind:     by_value
      - .offset:         32
        .size:           4
        .value_kind:     by_value
      - .offset:         40
        .size:           8
        .value_kind:     by_value
      - .offset:         48
        .size:           8
        .value_kind:     by_value
      - .offset:         56
        .size:           4
        .value_kind:     hidden_block_count_x
      - .offset:         60
        .size:           4
        .value_kind:     hidden_block_count_y
      - .offset:         64
        .size:           4
        .value_kind:     hidden_block_count_z
      - .offset:         68
        .size:           2
        .value_kind:     hidden_group_size_x
      - .offset:         70
        .size:           2
        .value_kind:     hidden_group_size_y
      - .offset:         72
        .size:           2
        .value_kind:     hidden_group_size_z
      - .offset:         74
        .size:           2
        .value_kind:     hidden_remainder_x
      - .offset:         76
        .size:           2
        .value_kind:     hidden_remainder_y
      - .offset:         78
        .size:           2
        .value_kind:     hidden_remainder_z
      - .offset:         96
        .size:           8
        .value_kind:     hidden_global_offset_x
      - .offset:         104
        .size:           8
        .value_kind:     hidden_global_offset_y
      - .offset:         112
        .size:           8
        .value_kind:     hidden_global_offset_z
      - .offset:         120
        .size:           2
        .value_kind:     hidden_grid_dims
    .group_segment_fixed_size: 1024
    .kernarg_segment_align: 8
    .kernarg_segment_size: 312
    .language:       OpenCL C
    .language_version:
      - 2
      - 0
    .max_flat_workgroup_size: 1024
    .name:           _ZN2at6native12_GLOBAL__N_122pdist_kernel_cuda_implIfNS1_5distsIfE3twoEEEvPT_PKS6_llS6_dd
    .private_segment_fixed_size: 0
    .sgpr_count:     28
    .sgpr_spill_count: 0
    .symbol:         _ZN2at6native12_GLOBAL__N_122pdist_kernel_cuda_implIfNS1_5distsIfE3twoEEEvPT_PKS6_llS6_dd.kd
    .uniform_work_group_size: 1
    .uses_dynamic_stack: false
    .vgpr_count:     18
    .vgpr_spill_count: 0
    .wavefront_size: 64
  - .agpr_count:     0
    .args:
      - .address_space:  global
        .offset:         0
        .size:           8
        .value_kind:     global_buffer
      - .address_space:  global
        .offset:         8
        .size:           8
        .value_kind:     global_buffer
      - .offset:         16
        .size:           8
        .value_kind:     by_value
      - .offset:         24
        .size:           8
        .value_kind:     by_value
      - .offset:         32
        .size:           4
        .value_kind:     by_value
      - .offset:         40
        .size:           8
        .value_kind:     by_value
      - .offset:         48
        .size:           8
        .value_kind:     by_value
      - .offset:         56
        .size:           4
        .value_kind:     hidden_block_count_x
      - .offset:         60
        .size:           4
        .value_kind:     hidden_block_count_y
      - .offset:         64
        .size:           4
        .value_kind:     hidden_block_count_z
      - .offset:         68
        .size:           2
        .value_kind:     hidden_group_size_x
      - .offset:         70
        .size:           2
        .value_kind:     hidden_group_size_y
      - .offset:         72
        .size:           2
        .value_kind:     hidden_group_size_z
      - .offset:         74
        .size:           2
        .value_kind:     hidden_remainder_x
      - .offset:         76
        .size:           2
        .value_kind:     hidden_remainder_y
      - .offset:         78
        .size:           2
        .value_kind:     hidden_remainder_z
      - .offset:         96
        .size:           8
        .value_kind:     hidden_global_offset_x
      - .offset:         104
        .size:           8
        .value_kind:     hidden_global_offset_y
      - .offset:         112
        .size:           8
        .value_kind:     hidden_global_offset_z
      - .offset:         120
        .size:           2
        .value_kind:     hidden_grid_dims
    .group_segment_fixed_size: 1024
    .kernarg_segment_align: 8
    .kernarg_segment_size: 312
    .language:       OpenCL C
    .language_version:
      - 2
      - 0
    .max_flat_workgroup_size: 1024
    .name:           _ZN2at6native12_GLOBAL__N_122pdist_kernel_cuda_implIfNS1_5distsIfE3infEEEvPT_PKS6_llS6_dd
    .private_segment_fixed_size: 0
    .sgpr_count:     28
    .sgpr_spill_count: 0
    .symbol:         _ZN2at6native12_GLOBAL__N_122pdist_kernel_cuda_implIfNS1_5distsIfE3infEEEvPT_PKS6_llS6_dd.kd
    .uniform_work_group_size: 1
    .uses_dynamic_stack: false
    .vgpr_count:     18
    .vgpr_spill_count: 0
    .wavefront_size: 64
  - .agpr_count:     0
    .args:
      - .address_space:  global
        .offset:         0
        .size:           8
        .value_kind:     global_buffer
      - .address_space:  global
        .offset:         8
        .size:           8
        .value_kind:     global_buffer
      - .address_space:  global
        .offset:         16
        .size:           8
        .value_kind:     global_buffer
      - .address_space:  global
        .offset:         24
        .size:           8
        .value_kind:     global_buffer
      - .offset:         32
        .size:           8
        .value_kind:     by_value
      - .offset:         40
        .size:           8
        .value_kind:     by_value
      - .offset:         48
        .size:           8
        .value_kind:     by_value
      - .offset:         56
        .size:           8
        .value_kind:     by_value
      - .offset:         64
        .size:           8
        .value_kind:     by_value
      - .offset:         72
        .size:           8
        .value_kind:     by_value
      - .offset:         80
        .size:           8
        .value_kind:     by_value
      - .offset:         88
        .size:           4
        .value_kind:     hidden_block_count_x
      - .offset:         92
        .size:           4
        .value_kind:     hidden_block_count_y
      - .offset:         96
        .size:           4
        .value_kind:     hidden_block_count_z
      - .offset:         100
        .size:           2
        .value_kind:     hidden_group_size_x
      - .offset:         102
        .size:           2
        .value_kind:     hidden_group_size_y
      - .offset:         104
        .size:           2
        .value_kind:     hidden_group_size_z
      - .offset:         106
        .size:           2
        .value_kind:     hidden_remainder_x
      - .offset:         108
        .size:           2
        .value_kind:     hidden_remainder_y
      - .offset:         110
        .size:           2
        .value_kind:     hidden_remainder_z
      - .offset:         128
        .size:           8
        .value_kind:     hidden_global_offset_x
      - .offset:         136
        .size:           8
        .value_kind:     hidden_global_offset_y
      - .offset:         144
        .size:           8
        .value_kind:     hidden_global_offset_z
      - .offset:         152
        .size:           2
        .value_kind:     hidden_grid_dims
    .group_segment_fixed_size: 0
    .kernarg_segment_align: 8
    .kernarg_segment_size: 344
    .language:       OpenCL C
    .language_version:
      - 2
      - 0
    .max_flat_workgroup_size: 1024
    .name:           _ZN2at6native12_GLOBAL__N_131pdist_backward_kernel_cuda_implIdNS1_5distsIdE1pEEEvPT_PKS6_S9_S9_llllS6_dd
    .private_segment_fixed_size: 0
    .sgpr_count:     57
    .sgpr_spill_count: 0
    .symbol:         _ZN2at6native12_GLOBAL__N_131pdist_backward_kernel_cuda_implIdNS1_5distsIdE1pEEEvPT_PKS6_S9_S9_llllS6_dd.kd
    .uniform_work_group_size: 1
    .uses_dynamic_stack: false
    .vgpr_count:     84
    .vgpr_spill_count: 0
    .wavefront_size: 64
  - .agpr_count:     0
    .args:
      - .address_space:  global
        .offset:         0
        .size:           8
        .value_kind:     global_buffer
      - .address_space:  global
        .offset:         8
        .size:           8
        .value_kind:     global_buffer
      - .address_space:  global
        .offset:         16
        .size:           8
        .value_kind:     global_buffer
      - .address_space:  global
        .offset:         24
        .size:           8
        .value_kind:     global_buffer
      - .offset:         32
        .size:           8
        .value_kind:     by_value
      - .offset:         40
        .size:           8
        .value_kind:     by_value
      - .offset:         48
        .size:           8
        .value_kind:     by_value
      - .offset:         56
        .size:           8
        .value_kind:     by_value
      - .offset:         64
        .size:           8
        .value_kind:     by_value
      - .offset:         72
        .size:           8
        .value_kind:     by_value
      - .offset:         80
        .size:           8
        .value_kind:     by_value
      - .offset:         88
        .size:           4
        .value_kind:     hidden_block_count_x
      - .offset:         92
        .size:           4
        .value_kind:     hidden_block_count_y
      - .offset:         96
        .size:           4
        .value_kind:     hidden_block_count_z
      - .offset:         100
        .size:           2
        .value_kind:     hidden_group_size_x
      - .offset:         102
        .size:           2
        .value_kind:     hidden_group_size_y
      - .offset:         104
        .size:           2
        .value_kind:     hidden_group_size_z
      - .offset:         106
        .size:           2
        .value_kind:     hidden_remainder_x
      - .offset:         108
        .size:           2
        .value_kind:     hidden_remainder_y
      - .offset:         110
        .size:           2
        .value_kind:     hidden_remainder_z
      - .offset:         128
        .size:           8
        .value_kind:     hidden_global_offset_x
      - .offset:         136
        .size:           8
        .value_kind:     hidden_global_offset_y
      - .offset:         144
        .size:           8
        .value_kind:     hidden_global_offset_z
      - .offset:         152
        .size:           2
        .value_kind:     hidden_grid_dims
    .group_segment_fixed_size: 0
    .kernarg_segment_align: 8
    .kernarg_segment_size: 344
    .language:       OpenCL C
    .language_version:
      - 2
      - 0
    .max_flat_workgroup_size: 1024
    .name:           _ZN2at6native12_GLOBAL__N_131pdist_backward_kernel_cuda_implIdNS1_5distsIdE3oneEEEvPT_PKS6_S9_S9_llllS6_dd
    .private_segment_fixed_size: 0
    .sgpr_count:     26
    .sgpr_spill_count: 0
    .symbol:         _ZN2at6native12_GLOBAL__N_131pdist_backward_kernel_cuda_implIdNS1_5distsIdE3oneEEEvPT_PKS6_S9_S9_llllS6_dd.kd
    .uniform_work_group_size: 1
    .uses_dynamic_stack: false
    .vgpr_count:     25
    .vgpr_spill_count: 0
    .wavefront_size: 64
  - .agpr_count:     0
    .args:
      - .address_space:  global
        .offset:         0
        .size:           8
        .value_kind:     global_buffer
      - .address_space:  global
        .offset:         8
        .size:           8
        .value_kind:     global_buffer
      - .address_space:  global
        .offset:         16
        .size:           8
        .value_kind:     global_buffer
      - .address_space:  global
        .offset:         24
        .size:           8
        .value_kind:     global_buffer
      - .offset:         32
        .size:           8
        .value_kind:     by_value
      - .offset:         40
        .size:           8
        .value_kind:     by_value
      - .offset:         48
        .size:           8
        .value_kind:     by_value
      - .offset:         56
        .size:           8
        .value_kind:     by_value
      - .offset:         64
        .size:           8
        .value_kind:     by_value
      - .offset:         72
        .size:           8
        .value_kind:     by_value
      - .offset:         80
        .size:           8
        .value_kind:     by_value
      - .offset:         88
        .size:           4
        .value_kind:     hidden_block_count_x
      - .offset:         92
        .size:           4
        .value_kind:     hidden_block_count_y
      - .offset:         96
        .size:           4
        .value_kind:     hidden_block_count_z
      - .offset:         100
        .size:           2
        .value_kind:     hidden_group_size_x
      - .offset:         102
        .size:           2
        .value_kind:     hidden_group_size_y
      - .offset:         104
        .size:           2
        .value_kind:     hidden_group_size_z
      - .offset:         106
        .size:           2
        .value_kind:     hidden_remainder_x
      - .offset:         108
        .size:           2
        .value_kind:     hidden_remainder_y
      - .offset:         110
        .size:           2
        .value_kind:     hidden_remainder_z
      - .offset:         128
        .size:           8
        .value_kind:     hidden_global_offset_x
      - .offset:         136
        .size:           8
        .value_kind:     hidden_global_offset_y
      - .offset:         144
        .size:           8
        .value_kind:     hidden_global_offset_z
      - .offset:         152
        .size:           2
        .value_kind:     hidden_grid_dims
    .group_segment_fixed_size: 0
    .kernarg_segment_align: 8
    .kernarg_segment_size: 344
    .language:       OpenCL C
    .language_version:
      - 2
      - 0
    .max_flat_workgroup_size: 1024
    .name:           _ZN2at6native12_GLOBAL__N_131pdist_backward_kernel_cuda_implIdNS1_5distsIdE6lt_twoEEEvPT_PKS6_S9_S9_llllS6_dd
    .private_segment_fixed_size: 0
    .sgpr_count:     57
    .sgpr_spill_count: 0
    .symbol:         _ZN2at6native12_GLOBAL__N_131pdist_backward_kernel_cuda_implIdNS1_5distsIdE6lt_twoEEEvPT_PKS6_S9_S9_llllS6_dd.kd
    .uniform_work_group_size: 1
    .uses_dynamic_stack: false
    .vgpr_count:     88
    .vgpr_spill_count: 0
    .wavefront_size: 64
  - .agpr_count:     0
    .args:
      - .address_space:  global
        .offset:         0
        .size:           8
        .value_kind:     global_buffer
      - .address_space:  global
        .offset:         8
        .size:           8
        .value_kind:     global_buffer
      - .address_space:  global
        .offset:         16
        .size:           8
        .value_kind:     global_buffer
      - .address_space:  global
        .offset:         24
        .size:           8
        .value_kind:     global_buffer
      - .offset:         32
        .size:           8
        .value_kind:     by_value
      - .offset:         40
        .size:           8
        .value_kind:     by_value
      - .offset:         48
        .size:           8
        .value_kind:     by_value
      - .offset:         56
        .size:           8
        .value_kind:     by_value
      - .offset:         64
        .size:           8
        .value_kind:     by_value
      - .offset:         72
        .size:           8
        .value_kind:     by_value
      - .offset:         80
        .size:           8
        .value_kind:     by_value
      - .offset:         88
        .size:           4
        .value_kind:     hidden_block_count_x
      - .offset:         92
        .size:           4
        .value_kind:     hidden_block_count_y
      - .offset:         96
        .size:           4
        .value_kind:     hidden_block_count_z
      - .offset:         100
        .size:           2
        .value_kind:     hidden_group_size_x
      - .offset:         102
        .size:           2
        .value_kind:     hidden_group_size_y
      - .offset:         104
        .size:           2
        .value_kind:     hidden_group_size_z
      - .offset:         106
        .size:           2
        .value_kind:     hidden_remainder_x
      - .offset:         108
        .size:           2
        .value_kind:     hidden_remainder_y
      - .offset:         110
        .size:           2
        .value_kind:     hidden_remainder_z
      - .offset:         128
        .size:           8
        .value_kind:     hidden_global_offset_x
      - .offset:         136
        .size:           8
        .value_kind:     hidden_global_offset_y
      - .offset:         144
        .size:           8
        .value_kind:     hidden_global_offset_z
      - .offset:         152
        .size:           2
        .value_kind:     hidden_grid_dims
    .group_segment_fixed_size: 0
    .kernarg_segment_align: 8
    .kernarg_segment_size: 344
    .language:       OpenCL C
    .language_version:
      - 2
      - 0
    .max_flat_workgroup_size: 1024
    .name:           _ZN2at6native12_GLOBAL__N_131pdist_backward_kernel_cuda_implIdNS1_5distsIdE3twoEEEvPT_PKS6_S9_S9_llllS6_dd
    .private_segment_fixed_size: 0
    .sgpr_count:     30
    .sgpr_spill_count: 0
    .symbol:         _ZN2at6native12_GLOBAL__N_131pdist_backward_kernel_cuda_implIdNS1_5distsIdE3twoEEEvPT_PKS6_S9_S9_llllS6_dd.kd
    .uniform_work_group_size: 1
    .uses_dynamic_stack: false
    .vgpr_count:     28
    .vgpr_spill_count: 0
    .wavefront_size: 64
  - .agpr_count:     0
    .args:
      - .address_space:  global
        .offset:         0
        .size:           8
        .value_kind:     global_buffer
      - .address_space:  global
        .offset:         8
        .size:           8
        .value_kind:     global_buffer
      - .address_space:  global
        .offset:         16
        .size:           8
        .value_kind:     global_buffer
      - .address_space:  global
        .offset:         24
        .size:           8
        .value_kind:     global_buffer
      - .offset:         32
        .size:           8
        .value_kind:     by_value
      - .offset:         40
        .size:           8
        .value_kind:     by_value
      - .offset:         48
        .size:           8
        .value_kind:     by_value
      - .offset:         56
        .size:           8
        .value_kind:     by_value
      - .offset:         64
        .size:           8
        .value_kind:     by_value
      - .offset:         72
        .size:           8
        .value_kind:     by_value
      - .offset:         80
        .size:           8
        .value_kind:     by_value
      - .offset:         88
        .size:           4
        .value_kind:     hidden_block_count_x
      - .offset:         92
        .size:           4
        .value_kind:     hidden_block_count_y
      - .offset:         96
        .size:           4
        .value_kind:     hidden_block_count_z
      - .offset:         100
        .size:           2
        .value_kind:     hidden_group_size_x
      - .offset:         102
        .size:           2
        .value_kind:     hidden_group_size_y
      - .offset:         104
        .size:           2
        .value_kind:     hidden_group_size_z
      - .offset:         106
        .size:           2
        .value_kind:     hidden_remainder_x
      - .offset:         108
        .size:           2
        .value_kind:     hidden_remainder_y
      - .offset:         110
        .size:           2
        .value_kind:     hidden_remainder_z
      - .offset:         128
        .size:           8
        .value_kind:     hidden_global_offset_x
      - .offset:         136
        .size:           8
        .value_kind:     hidden_global_offset_y
      - .offset:         144
        .size:           8
        .value_kind:     hidden_global_offset_z
      - .offset:         152
        .size:           2
        .value_kind:     hidden_grid_dims
    .group_segment_fixed_size: 0
    .kernarg_segment_align: 8
    .kernarg_segment_size: 344
    .language:       OpenCL C
    .language_version:
      - 2
      - 0
    .max_flat_workgroup_size: 1024
    .name:           _ZN2at6native12_GLOBAL__N_131pdist_backward_kernel_cuda_implIdNS1_5distsIdE3infEEEvPT_PKS6_S9_S9_llllS6_dd
    .private_segment_fixed_size: 0
    .sgpr_count:     30
    .sgpr_spill_count: 0
    .symbol:         _ZN2at6native12_GLOBAL__N_131pdist_backward_kernel_cuda_implIdNS1_5distsIdE3infEEEvPT_PKS6_S9_S9_llllS6_dd.kd
    .uniform_work_group_size: 1
    .uses_dynamic_stack: false
    .vgpr_count:     30
    .vgpr_spill_count: 0
    .wavefront_size: 64
  - .agpr_count:     0
    .args:
      - .address_space:  global
        .offset:         0
        .size:           8
        .value_kind:     global_buffer
      - .address_space:  global
        .offset:         8
        .size:           8
        .value_kind:     global_buffer
      - .address_space:  global
        .offset:         16
        .size:           8
        .value_kind:     global_buffer
      - .address_space:  global
        .offset:         24
        .size:           8
        .value_kind:     global_buffer
      - .offset:         32
        .size:           8
        .value_kind:     by_value
      - .offset:         40
        .size:           8
        .value_kind:     by_value
      - .offset:         48
        .size:           8
        .value_kind:     by_value
      - .offset:         56
        .size:           8
        .value_kind:     by_value
      - .offset:         64
        .size:           4
        .value_kind:     by_value
      - .offset:         72
        .size:           8
        .value_kind:     by_value
      - .offset:         80
        .size:           8
        .value_kind:     by_value
      - .offset:         88
        .size:           4
        .value_kind:     hidden_block_count_x
      - .offset:         92
        .size:           4
        .value_kind:     hidden_block_count_y
      - .offset:         96
        .size:           4
        .value_kind:     hidden_block_count_z
      - .offset:         100
        .size:           2
        .value_kind:     hidden_group_size_x
      - .offset:         102
        .size:           2
        .value_kind:     hidden_group_size_y
      - .offset:         104
        .size:           2
        .value_kind:     hidden_group_size_z
      - .offset:         106
        .size:           2
        .value_kind:     hidden_remainder_x
      - .offset:         108
        .size:           2
        .value_kind:     hidden_remainder_y
      - .offset:         110
        .size:           2
        .value_kind:     hidden_remainder_z
      - .offset:         128
        .size:           8
        .value_kind:     hidden_global_offset_x
      - .offset:         136
        .size:           8
        .value_kind:     hidden_global_offset_y
      - .offset:         144
        .size:           8
        .value_kind:     hidden_global_offset_z
      - .offset:         152
        .size:           2
        .value_kind:     hidden_grid_dims
    .group_segment_fixed_size: 0
    .kernarg_segment_align: 8
    .kernarg_segment_size: 344
    .language:       OpenCL C
    .language_version:
      - 2
      - 0
    .max_flat_workgroup_size: 1024
    .name:           _ZN2at6native12_GLOBAL__N_131pdist_backward_kernel_cuda_implIfNS1_5distsIfE1pEEEvPT_PKS6_S9_S9_llllS6_dd
    .private_segment_fixed_size: 0
    .sgpr_count:     31
    .sgpr_spill_count: 0
    .symbol:         _ZN2at6native12_GLOBAL__N_131pdist_backward_kernel_cuda_implIfNS1_5distsIfE1pEEEvPT_PKS6_S9_S9_llllS6_dd.kd
    .uniform_work_group_size: 1
    .uses_dynamic_stack: false
    .vgpr_count:     44
    .vgpr_spill_count: 0
    .wavefront_size: 64
  - .agpr_count:     0
    .args:
      - .address_space:  global
        .offset:         0
        .size:           8
        .value_kind:     global_buffer
      - .address_space:  global
        .offset:         8
        .size:           8
        .value_kind:     global_buffer
      - .address_space:  global
        .offset:         16
        .size:           8
        .value_kind:     global_buffer
      - .address_space:  global
        .offset:         24
        .size:           8
        .value_kind:     global_buffer
      - .offset:         32
        .size:           8
        .value_kind:     by_value
      - .offset:         40
        .size:           8
        .value_kind:     by_value
      - .offset:         48
        .size:           8
        .value_kind:     by_value
      - .offset:         56
        .size:           8
        .value_kind:     by_value
      - .offset:         64
        .size:           4
        .value_kind:     by_value
      - .offset:         72
        .size:           8
        .value_kind:     by_value
      - .offset:         80
        .size:           8
        .value_kind:     by_value
      - .offset:         88
        .size:           4
        .value_kind:     hidden_block_count_x
      - .offset:         92
        .size:           4
        .value_kind:     hidden_block_count_y
      - .offset:         96
        .size:           4
        .value_kind:     hidden_block_count_z
      - .offset:         100
        .size:           2
        .value_kind:     hidden_group_size_x
      - .offset:         102
        .size:           2
        .value_kind:     hidden_group_size_y
      - .offset:         104
        .size:           2
        .value_kind:     hidden_group_size_z
      - .offset:         106
        .size:           2
        .value_kind:     hidden_remainder_x
      - .offset:         108
        .size:           2
        .value_kind:     hidden_remainder_y
      - .offset:         110
        .size:           2
        .value_kind:     hidden_remainder_z
      - .offset:         128
        .size:           8
        .value_kind:     hidden_global_offset_x
      - .offset:         136
        .size:           8
        .value_kind:     hidden_global_offset_y
      - .offset:         144
        .size:           8
        .value_kind:     hidden_global_offset_z
      - .offset:         152
        .size:           2
        .value_kind:     hidden_grid_dims
    .group_segment_fixed_size: 0
    .kernarg_segment_align: 8
    .kernarg_segment_size: 344
    .language:       OpenCL C
    .language_version:
      - 2
      - 0
    .max_flat_workgroup_size: 1024
    .name:           _ZN2at6native12_GLOBAL__N_131pdist_backward_kernel_cuda_implIfNS1_5distsIfE3oneEEEvPT_PKS6_S9_S9_llllS6_dd
    .private_segment_fixed_size: 0
    .sgpr_count:     26
    .sgpr_spill_count: 0
    .symbol:         _ZN2at6native12_GLOBAL__N_131pdist_backward_kernel_cuda_implIfNS1_5distsIfE3oneEEEvPT_PKS6_S9_S9_llllS6_dd.kd
    .uniform_work_group_size: 1
    .uses_dynamic_stack: false
    .vgpr_count:     22
    .vgpr_spill_count: 0
    .wavefront_size: 64
  - .agpr_count:     0
    .args:
      - .address_space:  global
        .offset:         0
        .size:           8
        .value_kind:     global_buffer
      - .address_space:  global
        .offset:         8
        .size:           8
        .value_kind:     global_buffer
      - .address_space:  global
        .offset:         16
        .size:           8
        .value_kind:     global_buffer
      - .address_space:  global
        .offset:         24
        .size:           8
        .value_kind:     global_buffer
      - .offset:         32
        .size:           8
        .value_kind:     by_value
      - .offset:         40
        .size:           8
        .value_kind:     by_value
      - .offset:         48
        .size:           8
        .value_kind:     by_value
      - .offset:         56
        .size:           8
        .value_kind:     by_value
      - .offset:         64
        .size:           4
        .value_kind:     by_value
      - .offset:         72
        .size:           8
        .value_kind:     by_value
      - .offset:         80
        .size:           8
        .value_kind:     by_value
      - .offset:         88
        .size:           4
        .value_kind:     hidden_block_count_x
      - .offset:         92
        .size:           4
        .value_kind:     hidden_block_count_y
      - .offset:         96
        .size:           4
        .value_kind:     hidden_block_count_z
      - .offset:         100
        .size:           2
        .value_kind:     hidden_group_size_x
      - .offset:         102
        .size:           2
        .value_kind:     hidden_group_size_y
      - .offset:         104
        .size:           2
        .value_kind:     hidden_group_size_z
      - .offset:         106
        .size:           2
        .value_kind:     hidden_remainder_x
      - .offset:         108
        .size:           2
        .value_kind:     hidden_remainder_y
      - .offset:         110
        .size:           2
        .value_kind:     hidden_remainder_z
      - .offset:         128
        .size:           8
        .value_kind:     hidden_global_offset_x
      - .offset:         136
        .size:           8
        .value_kind:     hidden_global_offset_y
      - .offset:         144
        .size:           8
        .value_kind:     hidden_global_offset_z
      - .offset:         152
        .size:           2
        .value_kind:     hidden_grid_dims
    .group_segment_fixed_size: 0
    .kernarg_segment_align: 8
    .kernarg_segment_size: 344
    .language:       OpenCL C
    .language_version:
      - 2
      - 0
    .max_flat_workgroup_size: 1024
    .name:           _ZN2at6native12_GLOBAL__N_131pdist_backward_kernel_cuda_implIfNS1_5distsIfE6lt_twoEEEvPT_PKS6_S9_S9_llllS6_dd
    .private_segment_fixed_size: 0
    .sgpr_count:     30
    .sgpr_spill_count: 0
    .symbol:         _ZN2at6native12_GLOBAL__N_131pdist_backward_kernel_cuda_implIfNS1_5distsIfE6lt_twoEEEvPT_PKS6_S9_S9_llllS6_dd.kd
    .uniform_work_group_size: 1
    .uses_dynamic_stack: false
    .vgpr_count:     41
    .vgpr_spill_count: 0
    .wavefront_size: 64
  - .agpr_count:     0
    .args:
      - .address_space:  global
        .offset:         0
        .size:           8
        .value_kind:     global_buffer
      - .address_space:  global
        .offset:         8
        .size:           8
        .value_kind:     global_buffer
      - .address_space:  global
        .offset:         16
        .size:           8
        .value_kind:     global_buffer
      - .address_space:  global
        .offset:         24
        .size:           8
        .value_kind:     global_buffer
      - .offset:         32
        .size:           8
        .value_kind:     by_value
      - .offset:         40
        .size:           8
        .value_kind:     by_value
      - .offset:         48
        .size:           8
        .value_kind:     by_value
      - .offset:         56
        .size:           8
        .value_kind:     by_value
      - .offset:         64
        .size:           4
        .value_kind:     by_value
      - .offset:         72
        .size:           8
        .value_kind:     by_value
      - .offset:         80
        .size:           8
        .value_kind:     by_value
      - .offset:         88
        .size:           4
        .value_kind:     hidden_block_count_x
      - .offset:         92
        .size:           4
        .value_kind:     hidden_block_count_y
      - .offset:         96
        .size:           4
        .value_kind:     hidden_block_count_z
      - .offset:         100
        .size:           2
        .value_kind:     hidden_group_size_x
      - .offset:         102
        .size:           2
        .value_kind:     hidden_group_size_y
      - .offset:         104
        .size:           2
        .value_kind:     hidden_group_size_z
      - .offset:         106
        .size:           2
        .value_kind:     hidden_remainder_x
      - .offset:         108
        .size:           2
        .value_kind:     hidden_remainder_y
      - .offset:         110
        .size:           2
        .value_kind:     hidden_remainder_z
      - .offset:         128
        .size:           8
        .value_kind:     hidden_global_offset_x
      - .offset:         136
        .size:           8
        .value_kind:     hidden_global_offset_y
      - .offset:         144
        .size:           8
        .value_kind:     hidden_global_offset_z
      - .offset:         152
        .size:           2
        .value_kind:     hidden_grid_dims
    .group_segment_fixed_size: 0
    .kernarg_segment_align: 8
    .kernarg_segment_size: 344
    .language:       OpenCL C
    .language_version:
      - 2
      - 0
    .max_flat_workgroup_size: 1024
    .name:           _ZN2at6native12_GLOBAL__N_131pdist_backward_kernel_cuda_implIfNS1_5distsIfE3twoEEEvPT_PKS6_S9_S9_llllS6_dd
    .private_segment_fixed_size: 0
    .sgpr_count:     30
    .sgpr_spill_count: 0
    .symbol:         _ZN2at6native12_GLOBAL__N_131pdist_backward_kernel_cuda_implIfNS1_5distsIfE3twoEEEvPT_PKS6_S9_S9_llllS6_dd.kd
    .uniform_work_group_size: 1
    .uses_dynamic_stack: false
    .vgpr_count:     22
    .vgpr_spill_count: 0
    .wavefront_size: 64
  - .agpr_count:     0
    .args:
      - .address_space:  global
        .offset:         0
        .size:           8
        .value_kind:     global_buffer
      - .address_space:  global
        .offset:         8
        .size:           8
        .value_kind:     global_buffer
      - .address_space:  global
        .offset:         16
        .size:           8
        .value_kind:     global_buffer
      - .address_space:  global
        .offset:         24
        .size:           8
        .value_kind:     global_buffer
      - .offset:         32
        .size:           8
        .value_kind:     by_value
      - .offset:         40
        .size:           8
        .value_kind:     by_value
      - .offset:         48
        .size:           8
        .value_kind:     by_value
      - .offset:         56
        .size:           8
        .value_kind:     by_value
      - .offset:         64
        .size:           4
        .value_kind:     by_value
      - .offset:         72
        .size:           8
        .value_kind:     by_value
      - .offset:         80
        .size:           8
        .value_kind:     by_value
      - .offset:         88
        .size:           4
        .value_kind:     hidden_block_count_x
      - .offset:         92
        .size:           4
        .value_kind:     hidden_block_count_y
      - .offset:         96
        .size:           4
        .value_kind:     hidden_block_count_z
      - .offset:         100
        .size:           2
        .value_kind:     hidden_group_size_x
      - .offset:         102
        .size:           2
        .value_kind:     hidden_group_size_y
      - .offset:         104
        .size:           2
        .value_kind:     hidden_group_size_z
      - .offset:         106
        .size:           2
        .value_kind:     hidden_remainder_x
      - .offset:         108
        .size:           2
        .value_kind:     hidden_remainder_y
      - .offset:         110
        .size:           2
        .value_kind:     hidden_remainder_z
      - .offset:         128
        .size:           8
        .value_kind:     hidden_global_offset_x
      - .offset:         136
        .size:           8
        .value_kind:     hidden_global_offset_y
      - .offset:         144
        .size:           8
        .value_kind:     hidden_global_offset_z
      - .offset:         152
        .size:           2
        .value_kind:     hidden_grid_dims
    .group_segment_fixed_size: 0
    .kernarg_segment_align: 8
    .kernarg_segment_size: 344
    .language:       OpenCL C
    .language_version:
      - 2
      - 0
    .max_flat_workgroup_size: 1024
    .name:           _ZN2at6native12_GLOBAL__N_131pdist_backward_kernel_cuda_implIfNS1_5distsIfE3infEEEvPT_PKS6_S9_S9_llllS6_dd
    .private_segment_fixed_size: 0
    .sgpr_count:     30
    .sgpr_spill_count: 0
    .symbol:         _ZN2at6native12_GLOBAL__N_131pdist_backward_kernel_cuda_implIfNS1_5distsIfE3infEEEvPT_PKS6_S9_S9_llllS6_dd.kd
    .uniform_work_group_size: 1
    .uses_dynamic_stack: false
    .vgpr_count:     23
    .vgpr_spill_count: 0
    .wavefront_size: 64
  - .agpr_count:     0
    .args:
      - .address_space:  global
        .offset:         0
        .size:           8
        .value_kind:     global_buffer
      - .address_space:  global
        .offset:         8
        .size:           8
        .value_kind:     global_buffer
      - .address_space:  global
        .offset:         16
        .size:           8
        .value_kind:     global_buffer
      - .address_space:  global
        .offset:         24
        .size:           8
        .value_kind:     global_buffer
      - .address_space:  global
        .offset:         32
        .size:           8
        .value_kind:     global_buffer
      - .offset:         40
        .size:           8
        .value_kind:     by_value
      - .offset:         48
        .size:           8
        .value_kind:     by_value
      - .offset:         56
        .size:           8
        .value_kind:     by_value
      - .offset:         64
        .size:           8
        .value_kind:     by_value
      - .offset:         72
        .size:           8
        .value_kind:     by_value
      - .offset:         80
        .size:           8
        .value_kind:     by_value
      - .offset:         88
        .size:           8
        .value_kind:     by_value
      - .offset:         96
        .size:           8
        .value_kind:     by_value
      - .offset:         104
        .size:           4
        .value_kind:     hidden_block_count_x
      - .offset:         108
        .size:           4
        .value_kind:     hidden_block_count_y
      - .offset:         112
        .size:           4
        .value_kind:     hidden_block_count_z
      - .offset:         116
        .size:           2
        .value_kind:     hidden_group_size_x
      - .offset:         118
        .size:           2
        .value_kind:     hidden_group_size_y
      - .offset:         120
        .size:           2
        .value_kind:     hidden_group_size_z
      - .offset:         122
        .size:           2
        .value_kind:     hidden_remainder_x
      - .offset:         124
        .size:           2
        .value_kind:     hidden_remainder_y
      - .offset:         126
        .size:           2
        .value_kind:     hidden_remainder_z
      - .offset:         144
        .size:           8
        .value_kind:     hidden_global_offset_x
      - .offset:         152
        .size:           8
        .value_kind:     hidden_global_offset_y
      - .offset:         160
        .size:           8
        .value_kind:     hidden_global_offset_z
      - .offset:         168
        .size:           2
        .value_kind:     hidden_grid_dims
    .group_segment_fixed_size: 0
    .kernarg_segment_align: 8
    .kernarg_segment_size: 360
    .language:       OpenCL C
    .language_version:
      - 2
      - 0
    .max_flat_workgroup_size: 1024
    .name:           _ZN2at6native12_GLOBAL__N_131cdist_backward_kernel_cuda_implIdNS1_5distsIdE1pEEEvPT_PKS6_S9_S9_S9_S6_lllllll
    .private_segment_fixed_size: 0
    .sgpr_count:     62
    .sgpr_spill_count: 0
    .symbol:         _ZN2at6native12_GLOBAL__N_131cdist_backward_kernel_cuda_implIdNS1_5distsIdE1pEEEvPT_PKS6_S9_S9_S9_S6_lllllll.kd
    .uniform_work_group_size: 1
    .uses_dynamic_stack: false
    .vgpr_count:     82
    .vgpr_spill_count: 0
    .wavefront_size: 64
  - .agpr_count:     0
    .args:
      - .address_space:  global
        .offset:         0
        .size:           8
        .value_kind:     global_buffer
      - .address_space:  global
        .offset:         8
        .size:           8
        .value_kind:     global_buffer
      - .address_space:  global
        .offset:         16
        .size:           8
        .value_kind:     global_buffer
      - .address_space:  global
        .offset:         24
        .size:           8
        .value_kind:     global_buffer
      - .address_space:  global
        .offset:         32
        .size:           8
        .value_kind:     global_buffer
      - .offset:         40
        .size:           8
        .value_kind:     by_value
      - .offset:         48
        .size:           8
        .value_kind:     by_value
      - .offset:         56
        .size:           8
        .value_kind:     by_value
      - .offset:         64
        .size:           8
        .value_kind:     by_value
      - .offset:         72
        .size:           8
        .value_kind:     by_value
      - .offset:         80
        .size:           8
        .value_kind:     by_value
      - .offset:         88
        .size:           8
        .value_kind:     by_value
      - .offset:         96
        .size:           8
        .value_kind:     by_value
      - .offset:         104
        .size:           4
        .value_kind:     hidden_block_count_x
      - .offset:         108
        .size:           4
        .value_kind:     hidden_block_count_y
      - .offset:         112
        .size:           4
        .value_kind:     hidden_block_count_z
      - .offset:         116
        .size:           2
        .value_kind:     hidden_group_size_x
      - .offset:         118
        .size:           2
        .value_kind:     hidden_group_size_y
      - .offset:         120
        .size:           2
        .value_kind:     hidden_group_size_z
      - .offset:         122
        .size:           2
        .value_kind:     hidden_remainder_x
      - .offset:         124
        .size:           2
        .value_kind:     hidden_remainder_y
      - .offset:         126
        .size:           2
        .value_kind:     hidden_remainder_z
      - .offset:         144
        .size:           8
        .value_kind:     hidden_global_offset_x
      - .offset:         152
        .size:           8
        .value_kind:     hidden_global_offset_y
      - .offset:         160
        .size:           8
        .value_kind:     hidden_global_offset_z
      - .offset:         168
        .size:           2
        .value_kind:     hidden_grid_dims
    .group_segment_fixed_size: 0
    .kernarg_segment_align: 8
    .kernarg_segment_size: 360
    .language:       OpenCL C
    .language_version:
      - 2
      - 0
    .max_flat_workgroup_size: 1024
    .name:           _ZN2at6native12_GLOBAL__N_131cdist_backward_kernel_cuda_implIdNS1_5distsIdE3oneEEEvPT_PKS6_S9_S9_S9_S6_lllllll
    .private_segment_fixed_size: 0
    .sgpr_count:     32
    .sgpr_spill_count: 0
    .symbol:         _ZN2at6native12_GLOBAL__N_131cdist_backward_kernel_cuda_implIdNS1_5distsIdE3oneEEEvPT_PKS6_S9_S9_S9_S6_lllllll.kd
    .uniform_work_group_size: 1
    .uses_dynamic_stack: false
    .vgpr_count:     22
    .vgpr_spill_count: 0
    .wavefront_size: 64
  - .agpr_count:     0
    .args:
      - .address_space:  global
        .offset:         0
        .size:           8
        .value_kind:     global_buffer
      - .address_space:  global
        .offset:         8
        .size:           8
        .value_kind:     global_buffer
      - .address_space:  global
        .offset:         16
        .size:           8
        .value_kind:     global_buffer
      - .address_space:  global
        .offset:         24
        .size:           8
        .value_kind:     global_buffer
      - .address_space:  global
        .offset:         32
        .size:           8
        .value_kind:     global_buffer
      - .offset:         40
        .size:           8
        .value_kind:     by_value
      - .offset:         48
        .size:           8
        .value_kind:     by_value
      - .offset:         56
        .size:           8
        .value_kind:     by_value
      - .offset:         64
        .size:           8
        .value_kind:     by_value
      - .offset:         72
        .size:           8
        .value_kind:     by_value
      - .offset:         80
        .size:           8
        .value_kind:     by_value
      - .offset:         88
        .size:           8
        .value_kind:     by_value
      - .offset:         96
        .size:           8
        .value_kind:     by_value
      - .offset:         104
        .size:           4
        .value_kind:     hidden_block_count_x
      - .offset:         108
        .size:           4
        .value_kind:     hidden_block_count_y
      - .offset:         112
        .size:           4
        .value_kind:     hidden_block_count_z
      - .offset:         116
        .size:           2
        .value_kind:     hidden_group_size_x
      - .offset:         118
        .size:           2
        .value_kind:     hidden_group_size_y
      - .offset:         120
        .size:           2
        .value_kind:     hidden_group_size_z
      - .offset:         122
        .size:           2
        .value_kind:     hidden_remainder_x
      - .offset:         124
        .size:           2
        .value_kind:     hidden_remainder_y
      - .offset:         126
        .size:           2
        .value_kind:     hidden_remainder_z
      - .offset:         144
        .size:           8
        .value_kind:     hidden_global_offset_x
      - .offset:         152
        .size:           8
        .value_kind:     hidden_global_offset_y
      - .offset:         160
        .size:           8
        .value_kind:     hidden_global_offset_z
      - .offset:         168
        .size:           2
        .value_kind:     hidden_grid_dims
    .group_segment_fixed_size: 0
    .kernarg_segment_align: 8
    .kernarg_segment_size: 360
    .language:       OpenCL C
    .language_version:
      - 2
      - 0
    .max_flat_workgroup_size: 1024
    .name:           _ZN2at6native12_GLOBAL__N_131cdist_backward_kernel_cuda_implIdNS1_5distsIdE6lt_twoEEEvPT_PKS6_S9_S9_S9_S6_lllllll
    .private_segment_fixed_size: 0
    .sgpr_count:     64
    .sgpr_spill_count: 0
    .symbol:         _ZN2at6native12_GLOBAL__N_131cdist_backward_kernel_cuda_implIdNS1_5distsIdE6lt_twoEEEvPT_PKS6_S9_S9_S9_S6_lllllll.kd
    .uniform_work_group_size: 1
    .uses_dynamic_stack: false
    .vgpr_count:     86
    .vgpr_spill_count: 0
    .wavefront_size: 64
  - .agpr_count:     0
    .args:
      - .address_space:  global
        .offset:         0
        .size:           8
        .value_kind:     global_buffer
      - .address_space:  global
        .offset:         8
        .size:           8
        .value_kind:     global_buffer
      - .address_space:  global
        .offset:         16
        .size:           8
        .value_kind:     global_buffer
      - .address_space:  global
        .offset:         24
        .size:           8
        .value_kind:     global_buffer
      - .address_space:  global
        .offset:         32
        .size:           8
        .value_kind:     global_buffer
      - .offset:         40
        .size:           8
        .value_kind:     by_value
      - .offset:         48
        .size:           8
        .value_kind:     by_value
      - .offset:         56
        .size:           8
        .value_kind:     by_value
      - .offset:         64
        .size:           8
        .value_kind:     by_value
      - .offset:         72
        .size:           8
        .value_kind:     by_value
      - .offset:         80
        .size:           8
        .value_kind:     by_value
      - .offset:         88
        .size:           8
        .value_kind:     by_value
      - .offset:         96
        .size:           8
        .value_kind:     by_value
      - .offset:         104
        .size:           4
        .value_kind:     hidden_block_count_x
      - .offset:         108
        .size:           4
        .value_kind:     hidden_block_count_y
      - .offset:         112
        .size:           4
        .value_kind:     hidden_block_count_z
      - .offset:         116
        .size:           2
        .value_kind:     hidden_group_size_x
      - .offset:         118
        .size:           2
        .value_kind:     hidden_group_size_y
      - .offset:         120
        .size:           2
        .value_kind:     hidden_group_size_z
      - .offset:         122
        .size:           2
        .value_kind:     hidden_remainder_x
      - .offset:         124
        .size:           2
        .value_kind:     hidden_remainder_y
      - .offset:         126
        .size:           2
        .value_kind:     hidden_remainder_z
      - .offset:         144
        .size:           8
        .value_kind:     hidden_global_offset_x
      - .offset:         152
        .size:           8
        .value_kind:     hidden_global_offset_y
      - .offset:         160
        .size:           8
        .value_kind:     hidden_global_offset_z
      - .offset:         168
        .size:           2
        .value_kind:     hidden_grid_dims
    .group_segment_fixed_size: 0
    .kernarg_segment_align: 8
    .kernarg_segment_size: 360
    .language:       OpenCL C
    .language_version:
      - 2
      - 0
    .max_flat_workgroup_size: 1024
    .name:           _ZN2at6native12_GLOBAL__N_131cdist_backward_kernel_cuda_implIdNS1_5distsIdE3twoEEEvPT_PKS6_S9_S9_S9_S6_lllllll
    .private_segment_fixed_size: 0
    .sgpr_count:     48
    .sgpr_spill_count: 0
    .symbol:         _ZN2at6native12_GLOBAL__N_131cdist_backward_kernel_cuda_implIdNS1_5distsIdE3twoEEEvPT_PKS6_S9_S9_S9_S6_lllllll.kd
    .uniform_work_group_size: 1
    .uses_dynamic_stack: false
    .vgpr_count:     26
    .vgpr_spill_count: 0
    .wavefront_size: 64
  - .agpr_count:     0
    .args:
      - .address_space:  global
        .offset:         0
        .size:           8
        .value_kind:     global_buffer
      - .address_space:  global
        .offset:         8
        .size:           8
        .value_kind:     global_buffer
      - .address_space:  global
        .offset:         16
        .size:           8
        .value_kind:     global_buffer
      - .address_space:  global
        .offset:         24
        .size:           8
        .value_kind:     global_buffer
      - .address_space:  global
        .offset:         32
        .size:           8
        .value_kind:     global_buffer
      - .offset:         40
        .size:           8
        .value_kind:     by_value
      - .offset:         48
        .size:           8
        .value_kind:     by_value
      - .offset:         56
        .size:           8
        .value_kind:     by_value
      - .offset:         64
        .size:           8
        .value_kind:     by_value
      - .offset:         72
        .size:           8
        .value_kind:     by_value
      - .offset:         80
        .size:           8
        .value_kind:     by_value
      - .offset:         88
        .size:           8
        .value_kind:     by_value
      - .offset:         96
        .size:           8
        .value_kind:     by_value
      - .offset:         104
        .size:           4
        .value_kind:     hidden_block_count_x
      - .offset:         108
        .size:           4
        .value_kind:     hidden_block_count_y
      - .offset:         112
        .size:           4
        .value_kind:     hidden_block_count_z
      - .offset:         116
        .size:           2
        .value_kind:     hidden_group_size_x
      - .offset:         118
        .size:           2
        .value_kind:     hidden_group_size_y
      - .offset:         120
        .size:           2
        .value_kind:     hidden_group_size_z
      - .offset:         122
        .size:           2
        .value_kind:     hidden_remainder_x
      - .offset:         124
        .size:           2
        .value_kind:     hidden_remainder_y
      - .offset:         126
        .size:           2
        .value_kind:     hidden_remainder_z
      - .offset:         144
        .size:           8
        .value_kind:     hidden_global_offset_x
      - .offset:         152
        .size:           8
        .value_kind:     hidden_global_offset_y
      - .offset:         160
        .size:           8
        .value_kind:     hidden_global_offset_z
      - .offset:         168
        .size:           2
        .value_kind:     hidden_grid_dims
    .group_segment_fixed_size: 0
    .kernarg_segment_align: 8
    .kernarg_segment_size: 360
    .language:       OpenCL C
    .language_version:
      - 2
      - 0
    .max_flat_workgroup_size: 1024
    .name:           _ZN2at6native12_GLOBAL__N_131cdist_backward_kernel_cuda_implIdNS1_5distsIdE3infEEEvPT_PKS6_S9_S9_S9_S6_lllllll
    .private_segment_fixed_size: 0
    .sgpr_count:     48
    .sgpr_spill_count: 0
    .symbol:         _ZN2at6native12_GLOBAL__N_131cdist_backward_kernel_cuda_implIdNS1_5distsIdE3infEEEvPT_PKS6_S9_S9_S9_S6_lllllll.kd
    .uniform_work_group_size: 1
    .uses_dynamic_stack: false
    .vgpr_count:     28
    .vgpr_spill_count: 0
    .wavefront_size: 64
  - .agpr_count:     0
    .args:
      - .address_space:  global
        .offset:         0
        .size:           8
        .value_kind:     global_buffer
      - .address_space:  global
        .offset:         8
        .size:           8
        .value_kind:     global_buffer
      - .address_space:  global
        .offset:         16
        .size:           8
        .value_kind:     global_buffer
      - .address_space:  global
        .offset:         24
        .size:           8
        .value_kind:     global_buffer
      - .address_space:  global
        .offset:         32
        .size:           8
        .value_kind:     global_buffer
      - .offset:         40
        .size:           4
        .value_kind:     by_value
      - .offset:         48
        .size:           8
        .value_kind:     by_value
      - .offset:         56
        .size:           8
        .value_kind:     by_value
      - .offset:         64
        .size:           8
        .value_kind:     by_value
      - .offset:         72
        .size:           8
        .value_kind:     by_value
      - .offset:         80
        .size:           8
        .value_kind:     by_value
      - .offset:         88
        .size:           8
        .value_kind:     by_value
      - .offset:         96
        .size:           8
        .value_kind:     by_value
      - .offset:         104
        .size:           4
        .value_kind:     hidden_block_count_x
      - .offset:         108
        .size:           4
        .value_kind:     hidden_block_count_y
      - .offset:         112
        .size:           4
        .value_kind:     hidden_block_count_z
      - .offset:         116
        .size:           2
        .value_kind:     hidden_group_size_x
      - .offset:         118
        .size:           2
        .value_kind:     hidden_group_size_y
      - .offset:         120
        .size:           2
        .value_kind:     hidden_group_size_z
      - .offset:         122
        .size:           2
        .value_kind:     hidden_remainder_x
      - .offset:         124
        .size:           2
        .value_kind:     hidden_remainder_y
      - .offset:         126
        .size:           2
        .value_kind:     hidden_remainder_z
      - .offset:         144
        .size:           8
        .value_kind:     hidden_global_offset_x
      - .offset:         152
        .size:           8
        .value_kind:     hidden_global_offset_y
      - .offset:         160
        .size:           8
        .value_kind:     hidden_global_offset_z
      - .offset:         168
        .size:           2
        .value_kind:     hidden_grid_dims
    .group_segment_fixed_size: 0
    .kernarg_segment_align: 8
    .kernarg_segment_size: 360
    .language:       OpenCL C
    .language_version:
      - 2
      - 0
    .max_flat_workgroup_size: 1024
    .name:           _ZN2at6native12_GLOBAL__N_131cdist_backward_kernel_cuda_implIfNS1_5distsIfE1pEEEvPT_PKS6_S9_S9_S9_S6_lllllll
    .private_segment_fixed_size: 0
    .sgpr_count:     48
    .sgpr_spill_count: 0
    .symbol:         _ZN2at6native12_GLOBAL__N_131cdist_backward_kernel_cuda_implIfNS1_5distsIfE1pEEEvPT_PKS6_S9_S9_S9_S6_lllllll.kd
    .uniform_work_group_size: 1
    .uses_dynamic_stack: false
    .vgpr_count:     42
    .vgpr_spill_count: 0
    .wavefront_size: 64
  - .agpr_count:     0
    .args:
      - .address_space:  global
        .offset:         0
        .size:           8
        .value_kind:     global_buffer
      - .address_space:  global
        .offset:         8
        .size:           8
        .value_kind:     global_buffer
      - .address_space:  global
        .offset:         16
        .size:           8
        .value_kind:     global_buffer
      - .address_space:  global
        .offset:         24
        .size:           8
        .value_kind:     global_buffer
      - .address_space:  global
        .offset:         32
        .size:           8
        .value_kind:     global_buffer
      - .offset:         40
        .size:           4
        .value_kind:     by_value
      - .offset:         48
        .size:           8
        .value_kind:     by_value
      - .offset:         56
        .size:           8
        .value_kind:     by_value
      - .offset:         64
        .size:           8
        .value_kind:     by_value
      - .offset:         72
        .size:           8
        .value_kind:     by_value
      - .offset:         80
        .size:           8
        .value_kind:     by_value
      - .offset:         88
        .size:           8
        .value_kind:     by_value
      - .offset:         96
        .size:           8
        .value_kind:     by_value
      - .offset:         104
        .size:           4
        .value_kind:     hidden_block_count_x
      - .offset:         108
        .size:           4
        .value_kind:     hidden_block_count_y
      - .offset:         112
        .size:           4
        .value_kind:     hidden_block_count_z
      - .offset:         116
        .size:           2
        .value_kind:     hidden_group_size_x
      - .offset:         118
        .size:           2
        .value_kind:     hidden_group_size_y
      - .offset:         120
        .size:           2
        .value_kind:     hidden_group_size_z
      - .offset:         122
        .size:           2
        .value_kind:     hidden_remainder_x
      - .offset:         124
        .size:           2
        .value_kind:     hidden_remainder_y
      - .offset:         126
        .size:           2
        .value_kind:     hidden_remainder_z
      - .offset:         144
        .size:           8
        .value_kind:     hidden_global_offset_x
      - .offset:         152
        .size:           8
        .value_kind:     hidden_global_offset_y
      - .offset:         160
        .size:           8
        .value_kind:     hidden_global_offset_z
      - .offset:         168
        .size:           2
        .value_kind:     hidden_grid_dims
    .group_segment_fixed_size: 0
    .kernarg_segment_align: 8
    .kernarg_segment_size: 360
    .language:       OpenCL C
    .language_version:
      - 2
      - 0
    .max_flat_workgroup_size: 1024
    .name:           _ZN2at6native12_GLOBAL__N_131cdist_backward_kernel_cuda_implIfNS1_5distsIfE3oneEEEvPT_PKS6_S9_S9_S9_S6_lllllll
    .private_segment_fixed_size: 0
    .sgpr_count:     32
    .sgpr_spill_count: 0
    .symbol:         _ZN2at6native12_GLOBAL__N_131cdist_backward_kernel_cuda_implIfNS1_5distsIfE3oneEEEvPT_PKS6_S9_S9_S9_S6_lllllll.kd
    .uniform_work_group_size: 1
    .uses_dynamic_stack: false
    .vgpr_count:     21
    .vgpr_spill_count: 0
    .wavefront_size: 64
  - .agpr_count:     0
    .args:
      - .address_space:  global
        .offset:         0
        .size:           8
        .value_kind:     global_buffer
      - .address_space:  global
        .offset:         8
        .size:           8
        .value_kind:     global_buffer
      - .address_space:  global
        .offset:         16
        .size:           8
        .value_kind:     global_buffer
      - .address_space:  global
        .offset:         24
        .size:           8
        .value_kind:     global_buffer
      - .address_space:  global
        .offset:         32
        .size:           8
        .value_kind:     global_buffer
      - .offset:         40
        .size:           4
        .value_kind:     by_value
      - .offset:         48
        .size:           8
        .value_kind:     by_value
      - .offset:         56
        .size:           8
        .value_kind:     by_value
      - .offset:         64
        .size:           8
        .value_kind:     by_value
      - .offset:         72
        .size:           8
        .value_kind:     by_value
      - .offset:         80
        .size:           8
        .value_kind:     by_value
      - .offset:         88
        .size:           8
        .value_kind:     by_value
      - .offset:         96
        .size:           8
        .value_kind:     by_value
      - .offset:         104
        .size:           4
        .value_kind:     hidden_block_count_x
      - .offset:         108
        .size:           4
        .value_kind:     hidden_block_count_y
      - .offset:         112
        .size:           4
        .value_kind:     hidden_block_count_z
      - .offset:         116
        .size:           2
        .value_kind:     hidden_group_size_x
      - .offset:         118
        .size:           2
        .value_kind:     hidden_group_size_y
      - .offset:         120
        .size:           2
        .value_kind:     hidden_group_size_z
      - .offset:         122
        .size:           2
        .value_kind:     hidden_remainder_x
      - .offset:         124
        .size:           2
        .value_kind:     hidden_remainder_y
      - .offset:         126
        .size:           2
        .value_kind:     hidden_remainder_z
      - .offset:         144
        .size:           8
        .value_kind:     hidden_global_offset_x
      - .offset:         152
        .size:           8
        .value_kind:     hidden_global_offset_y
      - .offset:         160
        .size:           8
        .value_kind:     hidden_global_offset_z
      - .offset:         168
        .size:           2
        .value_kind:     hidden_grid_dims
    .group_segment_fixed_size: 0
    .kernarg_segment_align: 8
    .kernarg_segment_size: 360
    .language:       OpenCL C
    .language_version:
      - 2
      - 0
    .max_flat_workgroup_size: 1024
    .name:           _ZN2at6native12_GLOBAL__N_131cdist_backward_kernel_cuda_implIfNS1_5distsIfE6lt_twoEEEvPT_PKS6_S9_S9_S9_S6_lllllll
    .private_segment_fixed_size: 0
    .sgpr_count:     48
    .sgpr_spill_count: 0
    .symbol:         _ZN2at6native12_GLOBAL__N_131cdist_backward_kernel_cuda_implIfNS1_5distsIfE6lt_twoEEEvPT_PKS6_S9_S9_S9_S6_lllllll.kd
    .uniform_work_group_size: 1
    .uses_dynamic_stack: false
    .vgpr_count:     39
    .vgpr_spill_count: 0
    .wavefront_size: 64
  - .agpr_count:     0
    .args:
      - .address_space:  global
        .offset:         0
        .size:           8
        .value_kind:     global_buffer
      - .address_space:  global
        .offset:         8
        .size:           8
        .value_kind:     global_buffer
      - .address_space:  global
        .offset:         16
        .size:           8
        .value_kind:     global_buffer
      - .address_space:  global
        .offset:         24
        .size:           8
        .value_kind:     global_buffer
      - .address_space:  global
        .offset:         32
        .size:           8
        .value_kind:     global_buffer
      - .offset:         40
        .size:           4
        .value_kind:     by_value
      - .offset:         48
        .size:           8
        .value_kind:     by_value
      - .offset:         56
        .size:           8
        .value_kind:     by_value
      - .offset:         64
        .size:           8
        .value_kind:     by_value
      - .offset:         72
        .size:           8
        .value_kind:     by_value
      - .offset:         80
        .size:           8
        .value_kind:     by_value
      - .offset:         88
        .size:           8
        .value_kind:     by_value
      - .offset:         96
        .size:           8
        .value_kind:     by_value
      - .offset:         104
        .size:           4
        .value_kind:     hidden_block_count_x
      - .offset:         108
        .size:           4
        .value_kind:     hidden_block_count_y
      - .offset:         112
        .size:           4
        .value_kind:     hidden_block_count_z
      - .offset:         116
        .size:           2
        .value_kind:     hidden_group_size_x
      - .offset:         118
        .size:           2
        .value_kind:     hidden_group_size_y
      - .offset:         120
        .size:           2
        .value_kind:     hidden_group_size_z
      - .offset:         122
        .size:           2
        .value_kind:     hidden_remainder_x
      - .offset:         124
        .size:           2
        .value_kind:     hidden_remainder_y
      - .offset:         126
        .size:           2
        .value_kind:     hidden_remainder_z
      - .offset:         144
        .size:           8
        .value_kind:     hidden_global_offset_x
      - .offset:         152
        .size:           8
        .value_kind:     hidden_global_offset_y
      - .offset:         160
        .size:           8
        .value_kind:     hidden_global_offset_z
      - .offset:         168
        .size:           2
        .value_kind:     hidden_grid_dims
    .group_segment_fixed_size: 0
    .kernarg_segment_align: 8
    .kernarg_segment_size: 360
    .language:       OpenCL C
    .language_version:
      - 2
      - 0
    .max_flat_workgroup_size: 1024
    .name:           _ZN2at6native12_GLOBAL__N_131cdist_backward_kernel_cuda_implIfNS1_5distsIfE3twoEEEvPT_PKS6_S9_S9_S9_S6_lllllll
    .private_segment_fixed_size: 0
    .sgpr_count:     48
    .sgpr_spill_count: 0
    .symbol:         _ZN2at6native12_GLOBAL__N_131cdist_backward_kernel_cuda_implIfNS1_5distsIfE3twoEEEvPT_PKS6_S9_S9_S9_S6_lllllll.kd
    .uniform_work_group_size: 1
    .uses_dynamic_stack: false
    .vgpr_count:     22
    .vgpr_spill_count: 0
    .wavefront_size: 64
  - .agpr_count:     0
    .args:
      - .address_space:  global
        .offset:         0
        .size:           8
        .value_kind:     global_buffer
      - .address_space:  global
        .offset:         8
        .size:           8
        .value_kind:     global_buffer
      - .address_space:  global
        .offset:         16
        .size:           8
        .value_kind:     global_buffer
      - .address_space:  global
        .offset:         24
        .size:           8
        .value_kind:     global_buffer
      - .address_space:  global
        .offset:         32
        .size:           8
        .value_kind:     global_buffer
      - .offset:         40
        .size:           4
        .value_kind:     by_value
      - .offset:         48
        .size:           8
        .value_kind:     by_value
      - .offset:         56
        .size:           8
        .value_kind:     by_value
      - .offset:         64
        .size:           8
        .value_kind:     by_value
      - .offset:         72
        .size:           8
        .value_kind:     by_value
      - .offset:         80
        .size:           8
        .value_kind:     by_value
      - .offset:         88
        .size:           8
        .value_kind:     by_value
      - .offset:         96
        .size:           8
        .value_kind:     by_value
      - .offset:         104
        .size:           4
        .value_kind:     hidden_block_count_x
      - .offset:         108
        .size:           4
        .value_kind:     hidden_block_count_y
      - .offset:         112
        .size:           4
        .value_kind:     hidden_block_count_z
      - .offset:         116
        .size:           2
        .value_kind:     hidden_group_size_x
      - .offset:         118
        .size:           2
        .value_kind:     hidden_group_size_y
      - .offset:         120
        .size:           2
        .value_kind:     hidden_group_size_z
      - .offset:         122
        .size:           2
        .value_kind:     hidden_remainder_x
      - .offset:         124
        .size:           2
        .value_kind:     hidden_remainder_y
      - .offset:         126
        .size:           2
        .value_kind:     hidden_remainder_z
      - .offset:         144
        .size:           8
        .value_kind:     hidden_global_offset_x
      - .offset:         152
        .size:           8
        .value_kind:     hidden_global_offset_y
      - .offset:         160
        .size:           8
        .value_kind:     hidden_global_offset_z
      - .offset:         168
        .size:           2
        .value_kind:     hidden_grid_dims
    .group_segment_fixed_size: 0
    .kernarg_segment_align: 8
    .kernarg_segment_size: 360
    .language:       OpenCL C
    .language_version:
      - 2
      - 0
    .max_flat_workgroup_size: 1024
    .name:           _ZN2at6native12_GLOBAL__N_131cdist_backward_kernel_cuda_implIfNS1_5distsIfE3infEEEvPT_PKS6_S9_S9_S9_S6_lllllll
    .private_segment_fixed_size: 0
    .sgpr_count:     48
    .sgpr_spill_count: 0
    .symbol:         _ZN2at6native12_GLOBAL__N_131cdist_backward_kernel_cuda_implIfNS1_5distsIfE3infEEEvPT_PKS6_S9_S9_S9_S6_lllllll.kd
    .uniform_work_group_size: 1
    .uses_dynamic_stack: false
    .vgpr_count:     22
    .vgpr_spill_count: 0
    .wavefront_size: 64
amdhsa.target:   amdgcn-amd-amdhsa--gfx90a
amdhsa.version:
  - 1
  - 2
...

	.end_amdgpu_metadata
